;; amdgpu-corpus repo=ROCm/rocFFT kind=compiled arch=gfx1100 opt=O3
	.text
	.amdgcn_target "amdgcn-amd-amdhsa--gfx1100"
	.amdhsa_code_object_version 6
	.protected	bluestein_single_fwd_len1638_dim1_dp_op_CI_CI ; -- Begin function bluestein_single_fwd_len1638_dim1_dp_op_CI_CI
	.globl	bluestein_single_fwd_len1638_dim1_dp_op_CI_CI
	.p2align	8
	.type	bluestein_single_fwd_len1638_dim1_dp_op_CI_CI,@function
bluestein_single_fwd_len1638_dim1_dp_op_CI_CI: ; @bluestein_single_fwd_len1638_dim1_dp_op_CI_CI
; %bb.0:
	s_load_b128 s[4:7], s[0:1], 0x28
	v_mul_u32_u24_e32 v1, 0x169, v0
	s_mov_b32 s2, exec_lo
	v_mov_b32_e32 v4, 0
	s_delay_alu instid0(VALU_DEP_2) | instskip(NEXT) | instid1(VALU_DEP_1)
	v_lshrrev_b32_e32 v1, 16, v1
	v_add_nc_u32_e32 v3, s15, v1
	s_delay_alu instid0(VALU_DEP_1)
	v_mov_b32_e32 v2, v3
	scratch_store_b64 off, v[2:3], off      ; 8-byte Folded Spill
	s_waitcnt lgkmcnt(0)
	v_cmpx_gt_u64_e64 s[4:5], v[3:4]
	s_cbranch_execz .LBB0_31
; %bb.1:
	s_clause 0x1
	s_load_b64 s[14:15], s[0:1], 0x0
	s_load_b64 s[12:13], s[0:1], 0x38
	v_mul_lo_u16 v1, 0xb6, v1
	s_delay_alu instid0(VALU_DEP_1) | instskip(NEXT) | instid1(VALU_DEP_1)
	v_sub_nc_u16 v0, v0, v1
	v_and_b32_e32 v192, 0xffff, v0
	v_cmp_gt_u16_e32 vcc_lo, 0x7e, v0
	s_delay_alu instid0(VALU_DEP_2)
	v_lshlrev_b32_e32 v255, 4, v192
	s_and_saveexec_b32 s3, vcc_lo
	s_cbranch_execz .LBB0_3
; %bb.2:
	s_load_b64 s[4:5], s[0:1], 0x18
	s_waitcnt lgkmcnt(0)
	v_add_co_u32 v15, s2, s14, v255
	s_delay_alu instid0(VALU_DEP_1) | instskip(NEXT) | instid1(VALU_DEP_2)
	v_add_co_ci_u32_e64 v23, null, s15, 0, s2
	v_add_co_u32 v16, s2, 0x1000, v15
	s_delay_alu instid0(VALU_DEP_1) | instskip(SKIP_1) | instid1(VALU_DEP_1)
	v_add_co_ci_u32_e64 v17, s2, 0, v23, s2
	v_add_co_u32 v24, s2, 0x2000, v15
	v_add_co_ci_u32_e64 v25, s2, 0, v23, s2
	v_add_co_u32 v32, s2, 0x3000, v15
	s_delay_alu instid0(VALU_DEP_1)
	v_add_co_ci_u32_e64 v33, s2, 0, v23, s2
	v_add_co_u32 v40, s2, 0x4000, v15
	s_load_b128 s[8:11], s[4:5], 0x0
	s_clause 0x1
	global_load_b128 v[0:3], v255, s[14:15]
	global_load_b128 v[4:7], v255, s[14:15] offset:2016
	scratch_load_b64 v[8:9], off, off       ; 8-byte Folded Reload
	v_add_co_ci_u32_e64 v41, s2, 0, v23, s2
	v_add_co_u32 v96, s2, 0x5000, v15
	s_delay_alu instid0(VALU_DEP_1) | instskip(SKIP_4) | instid1(SALU_CYCLE_1)
	v_add_co_ci_u32_e64 v97, s2, 0, v23, s2
	s_waitcnt lgkmcnt(0)
	v_mad_u64_u32 v[20:21], null, s8, v192, 0
	s_mul_i32 s4, s9, 0x7e0
	s_mul_hi_u32 s5, s8, 0x7e0
	s_add_i32 s5, s5, s4
	s_delay_alu instid0(VALU_DEP_1) | instskip(SKIP_4) | instid1(VALU_DEP_1)
	v_mov_b32_e32 v14, v21
	s_waitcnt vmcnt(0)
	v_mov_b32_e32 v22, v8
	global_load_b128 v[8:11], v255, s[14:15] offset:4032
	v_mad_u64_u32 v[12:13], null, s10, v22, 0
	v_mad_u64_u32 v[18:19], null, s11, v22, v[13:14]
	;; [unrolled: 1-line block ×3, first 2 shown]
	s_delay_alu instid0(VALU_DEP_2) | instskip(NEXT) | instid1(VALU_DEP_2)
	v_mov_b32_e32 v13, v18
	v_lshlrev_b64 v[20:21], 4, v[20:21]
	s_delay_alu instid0(VALU_DEP_2) | instskip(SKIP_4) | instid1(VALU_DEP_1)
	v_lshlrev_b64 v[22:23], 4, v[12:13]
	s_clause 0x1
	global_load_b128 v[12:15], v[16:17], off offset:1952
	global_load_b128 v[16:19], v[16:17], off offset:3968
	v_add_co_u32 v22, s2, s6, v22
	v_add_co_ci_u32_e64 v23, s2, s7, v23, s2
	s_mul_i32 s6, s8, 0x7e0
	s_delay_alu instid0(VALU_DEP_2) | instskip(NEXT) | instid1(VALU_DEP_1)
	v_add_co_u32 v44, s2, v22, v20
	v_add_co_ci_u32_e64 v45, s2, v23, v21, s2
	s_clause 0x1
	global_load_b128 v[20:23], v[24:25], off offset:1888
	global_load_b128 v[24:27], v[24:25], off offset:3904
	v_add_co_u32 v48, s2, v44, s6
	s_delay_alu instid0(VALU_DEP_1) | instskip(SKIP_4) | instid1(VALU_DEP_1)
	v_add_co_ci_u32_e64 v49, s2, s5, v45, s2
	s_clause 0x1
	global_load_b128 v[28:31], v[32:33], off offset:1824
	global_load_b128 v[32:35], v[32:33], off offset:3840
	v_add_co_u32 v52, s2, v48, s6
	v_add_co_ci_u32_e64 v53, s2, s5, v49, s2
	s_clause 0x1
	global_load_b128 v[36:39], v[40:41], off offset:1760
	global_load_b128 v[40:43], v[40:41], off offset:3776
	v_add_co_u32 v56, s2, v52, s6
	s_delay_alu instid0(VALU_DEP_1) | instskip(SKIP_4) | instid1(VALU_DEP_1)
	v_add_co_ci_u32_e64 v57, s2, s5, v53, s2
	s_clause 0x1
	global_load_b128 v[44:47], v[44:45], off
	global_load_b128 v[48:51], v[48:49], off
	v_add_co_u32 v60, s2, v56, s6
	v_add_co_ci_u32_e64 v61, s2, s5, v57, s2
	s_clause 0x1
	global_load_b128 v[52:55], v[52:53], off
	global_load_b128 v[56:59], v[56:57], off
	v_add_co_u32 v64, s2, v60, s6
	s_delay_alu instid0(VALU_DEP_1) | instskip(SKIP_2) | instid1(VALU_DEP_1)
	v_add_co_ci_u32_e64 v65, s2, s5, v61, s2
	global_load_b128 v[60:63], v[60:61], off
	v_add_co_u32 v68, s2, v64, s6
	v_add_co_ci_u32_e64 v69, s2, s5, v65, s2
	global_load_b128 v[64:67], v[64:65], off
	v_add_co_u32 v72, s2, v68, s6
	s_delay_alu instid0(VALU_DEP_1) | instskip(SKIP_2) | instid1(VALU_DEP_1)
	v_add_co_ci_u32_e64 v73, s2, s5, v69, s2
	global_load_b128 v[68:71], v[68:69], off
	v_add_co_u32 v76, s2, v72, s6
	v_add_co_ci_u32_e64 v77, s2, s5, v73, s2
	;; [unrolled: 7-line block ×3, first 2 shown]
	global_load_b128 v[80:83], v[80:81], off
	v_add_co_u32 v88, s2, v84, s6
	s_delay_alu instid0(VALU_DEP_1) | instskip(NEXT) | instid1(VALU_DEP_2)
	v_add_co_ci_u32_e64 v89, s2, s5, v85, s2
	v_add_co_u32 v100, s2, v88, s6
	s_delay_alu instid0(VALU_DEP_1)
	v_add_co_ci_u32_e64 v101, s2, s5, v89, s2
	global_load_b128 v[84:87], v[84:85], off
	global_load_b128 v[88:91], v[88:89], off
	s_clause 0x1
	global_load_b128 v[92:95], v[96:97], off offset:1696
	global_load_b128 v[96:99], v[96:97], off offset:3712
	global_load_b128 v[100:103], v[100:101], off
	s_waitcnt vmcnt(14)
	v_mul_f64 v[104:105], v[46:47], v[2:3]
	v_mul_f64 v[2:3], v[44:45], v[2:3]
	s_waitcnt vmcnt(13)
	v_mul_f64 v[106:107], v[50:51], v[6:7]
	v_mul_f64 v[6:7], v[48:49], v[6:7]
	;; [unrolled: 3-line block ×13, first 2 shown]
	v_fma_f64 v[42:43], v[44:45], v[0:1], v[104:105]
	v_fma_f64 v[44:45], v[46:47], v[0:1], -v[2:3]
	v_fma_f64 v[0:1], v[48:49], v[4:5], v[106:107]
	v_fma_f64 v[2:3], v[50:51], v[4:5], -v[6:7]
	;; [unrolled: 2-line block ×13, first 2 shown]
	ds_store_b128 v255, v[42:45]
	ds_store_b128 v255, v[0:3] offset:2016
	ds_store_b128 v255, v[4:7] offset:4032
	;; [unrolled: 1-line block ×12, first 2 shown]
.LBB0_3:
	s_or_b32 exec_lo, exec_lo, s3
	s_waitcnt lgkmcnt(0)
	s_waitcnt_vscnt null, 0x0
	s_barrier
	buffer_gl0_inv
                                        ; implicit-def: $vgpr12_vgpr13
                                        ; implicit-def: $vgpr24_vgpr25
                                        ; implicit-def: $vgpr32_vgpr33
                                        ; implicit-def: $vgpr36_vgpr37
                                        ; implicit-def: $vgpr48_vgpr49
                                        ; implicit-def: $vgpr44_vgpr45
                                        ; implicit-def: $vgpr40_vgpr41
                                        ; implicit-def: $vgpr28_vgpr29
                                        ; implicit-def: $vgpr20_vgpr21
                                        ; implicit-def: $vgpr16_vgpr17
                                        ; implicit-def: $vgpr8_vgpr9
                                        ; implicit-def: $vgpr4_vgpr5
                                        ; implicit-def: $vgpr0_vgpr1
	s_and_saveexec_b32 s2, vcc_lo
	s_cbranch_execz .LBB0_5
; %bb.4:
	ds_load_b128 v[12:15], v255
	ds_load_b128 v[24:27], v255 offset:2016
	ds_load_b128 v[32:35], v255 offset:4032
	ds_load_b128 v[36:39], v255 offset:6048
	ds_load_b128 v[48:51], v255 offset:8064
	ds_load_b128 v[44:47], v255 offset:10080
	ds_load_b128 v[40:43], v255 offset:12096
	ds_load_b128 v[28:31], v255 offset:14112
	ds_load_b128 v[20:23], v255 offset:16128
	ds_load_b128 v[16:19], v255 offset:18144
	ds_load_b128 v[8:11], v255 offset:20160
	ds_load_b128 v[4:7], v255 offset:22176
	ds_load_b128 v[0:3], v255 offset:24192
.LBB0_5:
	s_or_b32 exec_lo, exec_lo, s2
	s_waitcnt lgkmcnt(0)
	v_add_f64 v[66:67], v[26:27], -v[2:3]
	v_add_f64 v[62:63], v[24:25], -v[0:1]
	s_mov_b32 s16, 0x4267c47c
	s_mov_b32 s17, 0xbfddbe06
	v_add_f64 v[60:61], v[24:25], v[0:1]
	v_add_f64 v[64:65], v[26:27], v[2:3]
	v_add_f64 v[70:71], v[34:35], -v[6:7]
	v_add_f64 v[68:69], v[32:33], -v[4:5]
	s_mov_b32 s6, 0xe00740e9
	s_mov_b32 s4, 0x42a4c3d2
	;; [unrolled: 1-line block ×6, first 2 shown]
	v_add_f64 v[80:81], v[38:39], -v[10:11]
	v_add_f64 v[78:79], v[36:37], -v[8:9]
	v_add_f64 v[76:77], v[32:33], v[4:5]
	v_add_f64 v[82:83], v[34:35], v[6:7]
	s_mov_b32 s22, 0x1ea71119
	s_mov_b32 s20, 0x2ef20147
	;; [unrolled: 1-line block ×8, first 2 shown]
	v_add_f64 v[122:123], v[36:37], v[8:9]
	v_add_f64 v[128:129], v[38:39], v[10:11]
	v_add_f64 v[88:89], v[48:49], -v[16:17]
	v_add_f64 v[114:115], v[50:51], -v[18:19]
	s_mov_b32 s24, 0xb2365da1
	s_mov_b32 s28, 0x93053d00
	;; [unrolled: 1-line block ×8, first 2 shown]
	v_mul_f64 v[52:53], v[66:67], s[16:17]
	v_mul_f64 v[54:55], v[62:63], s[16:17]
	;; [unrolled: 1-line block ×12, first 2 shown]
	v_add_f64 v[108:109], v[48:49], v[16:17]
	v_add_f64 v[132:133], v[50:51], v[18:19]
	v_mul_f64 v[104:105], v[80:81], s[2:3]
	v_mul_f64 v[106:107], v[78:79], s[2:3]
	v_add_f64 v[90:91], v[44:45], -v[20:21]
	v_add_f64 v[118:119], v[46:47], -v[22:23]
	v_mul_f64 v[134:135], v[80:81], s[34:35]
	v_mul_f64 v[136:137], v[78:79], s[34:35]
	;; [unrolled: 1-line block ×8, first 2 shown]
	s_mov_b32 s36, 0xd0032e0c
	s_mov_b32 s41, 0x3fe5384d
	v_mul_f64 v[116:117], v[88:89], s[20:21]
	v_mul_f64 v[110:111], v[114:115], s[20:21]
	s_mov_b32 s37, 0xbfe7f3cc
	s_mov_b32 s31, 0x3fefc445
	;; [unrolled: 1-line block ×6, first 2 shown]
	v_add_f64 v[152:153], v[44:45], v[20:21]
	v_add_f64 v[182:183], v[46:47], v[22:23]
	s_clause 0x3
	scratch_store_b64 off, v[52:53], off offset:8
	scratch_store_b64 off, v[54:55], off offset:24
	;; [unrolled: 1-line block ×4, first 2 shown]
	v_fma_f64 v[52:53], v[60:61], s[6:7], v[52:53]
	v_fma_f64 v[54:55], v[64:65], s[6:7], -v[54:55]
	v_fma_f64 v[56:57], v[60:61], s[22:23], v[56:57]
	v_fma_f64 v[58:59], v[64:65], s[22:23], -v[58:59]
	v_fma_f64 v[92:93], v[60:61], s[18:19], v[146:147]
	v_fma_f64 v[94:95], v[76:77], s[22:23], v[112:113]
	v_fma_f64 v[96:97], v[64:65], s[18:19], -v[148:149]
	v_fma_f64 v[98:99], v[82:83], s[22:23], -v[120:121]
	v_fma_f64 v[102:103], v[76:77], s[24:25], v[124:125]
	v_fma_f64 v[154:155], v[82:83], s[24:25], -v[126:127]
	v_fma_f64 v[100:101], v[122:123], s[18:19], v[104:105]
	v_fma_f64 v[158:159], v[76:77], s[28:29], v[130:131]
	v_fma_f64 v[162:163], v[82:83], s[28:29], -v[138:139]
	v_fma_f64 v[164:165], v[128:129], s[18:19], -v[106:107]
	v_add_f64 v[144:145], v[40:41], -v[28:29]
	v_add_f64 v[160:161], v[42:43], -v[30:31]
	v_mul_f64 v[150:151], v[118:119], s[38:39]
	v_mul_f64 v[156:157], v[90:91], s[38:39]
	;; [unrolled: 1-line block ×6, first 2 shown]
	v_fma_f64 v[170:171], v[122:123], s[24:25], v[140:141]
	v_fma_f64 v[174:175], v[128:129], s[24:25], -v[142:143]
	v_fma_f64 v[178:179], v[132:133], s[24:25], -v[116:117]
	v_mul_f64 v[223:224], v[70:71], s[40:41]
	v_mul_f64 v[225:226], v[68:69], s[40:41]
	v_fma_f64 v[186:187], v[64:65], s[24:25], -v[213:214]
	v_mul_f64 v[231:232], v[70:71], s[30:31]
	v_fma_f64 v[193:194], v[60:61], s[36:37], v[237:238]
	v_mul_f64 v[233:234], v[68:69], s[30:31]
	v_fma_f64 v[195:196], v[64:65], s[36:37], -v[239:240]
	v_add_f64 v[184:185], v[42:43], v[30:31]
	v_mul_f64 v[166:167], v[90:91], s[30:31]
	v_mul_f64 v[168:169], v[118:119], s[4:5]
	;; [unrolled: 1-line block ×5, first 2 shown]
	v_add_f64 v[52:53], v[12:13], v[52:53]
	v_add_f64 v[54:55], v[14:15], v[54:55]
	;; [unrolled: 1-line block ×5, first 2 shown]
	v_mul_f64 v[227:228], v[80:81], s[4:5]
	v_add_f64 v[96:97], v[14:15], v[96:97]
	v_mul_f64 v[235:236], v[78:79], s[4:5]
	s_mov_b32 s47, 0x3fcea1e5
	s_mov_b32 s46, s34
	v_mul_f64 v[207:208], v[114:115], s[2:3]
	v_mul_f64 v[209:210], v[88:89], s[2:3]
	;; [unrolled: 1-line block ×4, first 2 shown]
	s_mov_b32 s45, 0x3fea55e2
	s_mov_b32 s44, s4
	v_fma_f64 v[197:198], v[152:153], s[36:37], v[150:151]
	v_fma_f64 v[203:204], v[182:183], s[36:37], -v[156:157]
	v_fma_f64 v[199:200], v[108:109], s[36:37], v[176:177]
	s_clause 0x1
	s_load_b64 s[10:11], s[0:1], 0x20
	s_load_b64 s[8:9], s[0:1], 0x8
	s_waitcnt lgkmcnt(0)
	s_waitcnt_vscnt null, 0x0
	v_fma_f64 v[201:202], v[132:133], s[6:7], -v[190:191]
	s_barrier
	buffer_gl0_inv
	v_fma_f64 v[211:212], v[82:83], s[36:37], -v[225:226]
	v_add_f64 v[219:220], v[14:15], v[186:187]
	v_fma_f64 v[241:242], v[76:77], s[18:19], v[231:232]
	v_add_f64 v[193:194], v[12:13], v[193:194]
	v_fma_f64 v[243:244], v[82:83], s[18:19], -v[233:234]
	v_add_f64 v[195:196], v[14:15], v[195:196]
	v_mul_f64 v[186:187], v[144:145], s[38:39]
	v_fma_f64 v[251:252], v[128:129], s[6:7], -v[221:222]
	v_add_f64 v[52:53], v[94:95], v[52:53]
	v_add_f64 v[54:55], v[98:99], v[54:55]
	v_fma_f64 v[94:95], v[108:109], s[24:25], v[110:111]
	v_fma_f64 v[98:99], v[122:123], s[28:29], v[134:135]
	v_add_f64 v[56:57], v[102:103], v[56:57]
	v_fma_f64 v[102:103], v[128:129], s[28:29], -v[136:137]
	v_add_f64 v[58:59], v[154:155], v[58:59]
	v_add_f64 v[92:93], v[158:159], v[92:93]
	v_add_f64 v[96:97], v[162:163], v[96:97]
	v_add_f64 v[162:163], v[40:41], v[28:29]
	v_mul_f64 v[154:155], v[160:161], s[34:35]
	v_mul_f64 v[158:159], v[144:145], s[34:35]
	v_fma_f64 v[253:254], v[122:123], s[22:23], v[227:228]
	v_fma_f64 v[86:87], v[132:133], s[28:29], -v[229:230]
	v_add_f64 v[211:212], v[211:212], v[219:220]
	v_mul_f64 v[219:220], v[90:91], s[42:43]
	v_add_f64 v[193:194], v[241:242], v[193:194]
	v_fma_f64 v[241:242], v[128:129], s[22:23], -v[235:236]
	v_add_f64 v[243:244], v[243:244], v[195:196]
	v_mul_f64 v[195:196], v[118:119], s[46:47]
	v_fma_f64 v[84:85], v[184:185], s[36:37], -v[186:187]
	v_add_f64 v[52:53], v[100:101], v[52:53]
	v_add_f64 v[54:55], v[164:165], v[54:55]
	v_fma_f64 v[100:101], v[60:61], s[24:25], v[205:206]
	v_mul_f64 v[164:165], v[118:119], s[30:31]
	v_add_f64 v[56:57], v[98:99], v[56:57]
	v_fma_f64 v[98:99], v[132:133], s[36:37], -v[180:181]
	v_add_f64 v[58:59], v[102:103], v[58:59]
	v_fma_f64 v[102:103], v[108:109], s[6:7], v[188:189]
	v_add_f64 v[92:93], v[170:171], v[92:93]
	v_add_f64 v[96:97], v[174:175], v[96:97]
	v_mul_f64 v[170:171], v[160:161], s[42:43]
	v_mul_f64 v[174:175], v[144:145], s[42:43]
	v_fma_f64 v[245:246], v[162:163], s[28:29], v[154:155]
	v_fma_f64 v[249:250], v[184:185], s[28:29], -v[158:159]
	v_add_f64 v[253:254], v[253:254], v[193:194]
	v_mul_f64 v[193:194], v[160:161], s[44:45]
	v_add_f64 v[241:242], v[241:242], v[243:244]
	v_add_f64 v[52:53], v[94:95], v[52:53]
	;; [unrolled: 1-line block ×3, first 2 shown]
	v_fma_f64 v[94:95], v[76:77], s[36:37], v[223:224]
	v_add_f64 v[100:101], v[12:13], v[100:101]
	v_mul_f64 v[178:179], v[160:161], s[38:39]
	v_fma_f64 v[247:248], v[152:153], s[18:19], v[164:165]
	v_add_f64 v[56:57], v[199:200], v[56:57]
	v_fma_f64 v[199:200], v[182:183], s[18:19], -v[166:167]
	v_add_f64 v[58:59], v[98:99], v[58:59]
	v_fma_f64 v[98:99], v[152:153], s[22:23], v[168:169]
	v_add_f64 v[92:93], v[102:103], v[92:93]
	v_fma_f64 v[102:103], v[182:183], s[22:23], -v[172:173]
	v_add_f64 v[96:97], v[201:202], v[96:97]
	v_mul_f64 v[201:202], v[118:119], s[42:43]
	v_add_f64 v[86:87], v[86:87], v[241:242]
	v_fma_f64 v[241:242], v[162:163], s[22:23], v[193:194]
	v_add_f64 v[52:53], v[197:198], v[52:53]
	v_add_f64 v[54:55], v[203:204], v[54:55]
	v_fma_f64 v[203:204], v[122:123], s[6:7], v[217:218]
	v_add_f64 v[94:95], v[94:95], v[100:101]
	v_mul_f64 v[197:198], v[90:91], s[46:47]
	v_fma_f64 v[72:73], v[162:163], s[36:37], v[178:179]
	v_add_f64 v[56:57], v[247:248], v[56:57]
	v_fma_f64 v[247:248], v[162:163], s[6:7], v[170:171]
	v_add_f64 v[58:59], v[199:200], v[58:59]
	v_fma_f64 v[199:200], v[184:185], s[6:7], -v[174:175]
	v_add_f64 v[92:93], v[98:99], v[92:93]
	v_add_f64 v[74:75], v[102:103], v[96:97]
	;; [unrolled: 1-line block ×4, first 2 shown]
	v_fma_f64 v[52:53], v[108:109], s[18:19], v[207:208]
	v_add_f64 v[54:55], v[203:204], v[94:95]
	v_fma_f64 v[245:246], v[132:133], s[18:19], -v[209:210]
	v_add_f64 v[249:250], v[251:252], v[211:212]
	v_fma_f64 v[251:252], v[108:109], s[28:29], v[215:216]
	v_add_f64 v[96:97], v[247:248], v[56:57]
	v_mul_f64 v[203:204], v[160:161], s[20:21]
	v_add_f64 v[98:99], v[199:200], v[58:59]
	v_mul_f64 v[199:200], v[144:145], s[44:45]
	v_add_f64 v[92:93], v[72:73], v[92:93]
	v_add_f64 v[94:95], v[84:85], v[74:75]
	v_mul_f64 v[211:212], v[144:145], s[20:21]
	v_fma_f64 v[56:57], v[152:153], s[28:29], v[195:196]
	v_fma_f64 v[72:73], v[152:153], s[6:7], v[201:202]
	v_fma_f64 v[84:85], v[182:183], s[6:7], -v[219:220]
	v_add_f64 v[52:53], v[52:53], v[54:55]
	v_fma_f64 v[54:55], v[182:183], s[28:29], -v[197:198]
	v_add_f64 v[58:59], v[245:246], v[249:250]
	v_add_f64 v[74:75], v[251:252], v[253:254]
	v_fma_f64 v[245:246], v[162:163], s[24:25], v[203:204]
	v_fma_f64 v[243:244], v[184:185], s[22:23], -v[199:200]
	v_add_f64 v[84:85], v[84:85], v[86:87]
	v_add_f64 v[52:53], v[56:57], v[52:53]
	;; [unrolled: 1-line block ×4, first 2 shown]
	v_fma_f64 v[74:75], v[184:185], s[24:25], -v[211:212]
	s_delay_alu instid0(VALU_DEP_4) | instskip(NEXT) | instid1(VALU_DEP_4)
	v_add_f64 v[56:57], v[241:242], v[52:53]
	v_add_f64 v[58:59], v[243:244], v[54:55]
	s_delay_alu instid0(VALU_DEP_4) | instskip(NEXT) | instid1(VALU_DEP_4)
	v_add_f64 v[52:53], v[245:246], v[72:73]
	v_add_f64 v[54:55], v[74:75], v[84:85]
	s_and_saveexec_b32 s0, vcc_lo
	s_cbranch_execz .LBB0_7
; %bb.6:
	v_add_f64 v[26:27], v[14:15], v[26:27]
	v_mul_f64 v[72:73], v[60:61], s[18:19]
	v_mul_f64 v[84:85], v[60:61], s[22:23]
	;; [unrolled: 1-line block ×3, first 2 shown]
	v_add_f64 v[24:25], v[12:13], v[24:25]
	v_mul_f64 v[74:75], v[64:65], s[22:23]
	v_mul_f64 v[70:71], v[70:71], s[42:43]
	;; [unrolled: 1-line block ×9, first 2 shown]
	v_add_f64 v[26:27], v[26:27], v[34:35]
	v_mul_f64 v[34:35], v[66:67], s[34:35]
	v_mul_f64 v[66:67], v[64:65], s[18:19]
	v_add_f64 v[24:25], v[24:25], v[32:33]
	v_mul_f64 v[32:33], v[64:65], s[28:29]
	v_add_f64 v[223:224], v[241:242], -v[223:224]
	v_mul_f64 v[241:242], v[108:109], s[36:37]
	v_add_f64 v[235:236], v[235:236], v[249:250]
	v_mul_f64 v[249:250], v[132:133], s[28:29]
	v_add_f64 v[140:141], v[245:246], -v[140:141]
	v_add_f64 v[227:228], v[247:248], -v[227:228]
	;; [unrolled: 1-line block ×3, first 2 shown]
	v_mul_f64 v[245:246], v[152:153], s[22:23]
	v_mul_f64 v[247:248], v[152:153], s[36:37]
	v_add_f64 v[26:27], v[26:27], v[38:39]
	v_mul_f64 v[38:39], v[60:61], s[36:37]
	v_add_f64 v[24:25], v[24:25], v[36:37]
	v_mul_f64 v[36:37], v[64:65], s[36:37]
	s_delay_alu instid0(VALU_DEP_4)
	v_add_f64 v[26:27], v[26:27], v[50:51]
	v_mul_f64 v[50:51], v[60:61], s[24:25]
	v_add_f64 v[38:39], v[38:39], -v[237:238]
	v_mul_f64 v[237:238], v[76:77], s[18:19]
	v_add_f64 v[24:25], v[24:25], v[48:49]
	v_mul_f64 v[48:49], v[64:65], s[24:25]
	v_mul_f64 v[64:65], v[64:65], s[6:7]
	v_add_f64 v[36:37], v[239:240], v[36:37]
	v_mul_f64 v[239:240], v[82:83], s[28:29]
	v_add_f64 v[26:27], v[26:27], v[46:47]
	v_fma_f64 v[46:47], v[60:61], s[28:29], v[34:35]
	v_fma_f64 v[34:35], v[60:61], s[28:29], -v[34:35]
	v_add_f64 v[60:61], v[148:149], v[66:67]
	scratch_load_b64 v[66:67], off, off offset:40 ; 8-byte Folded Reload
	v_add_f64 v[24:25], v[24:25], v[44:45]
	v_fma_f64 v[44:45], v[62:63], s[46:47], v[32:33]
	v_fma_f64 v[32:33], v[62:63], s[34:35], v[32:33]
	v_add_f64 v[62:63], v[72:73], -v[146:147]
	scratch_load_b64 v[72:73], off, off offset:32 ; 8-byte Folded Reload
	v_add_f64 v[48:49], v[213:214], v[48:49]
	v_add_f64 v[50:51], v[50:51], -v[205:206]
	v_mul_f64 v[146:147], v[76:77], s[24:25]
	v_mul_f64 v[148:149], v[82:83], s[18:19]
	;; [unrolled: 1-line block ×4, first 2 shown]
	v_add_f64 v[36:37], v[14:15], v[36:37]
	v_add_f64 v[38:39], v[12:13], v[38:39]
	;; [unrolled: 1-line block ×3, first 2 shown]
	v_add_f64 v[231:232], v[237:238], -v[231:232]
	v_mul_f64 v[239:240], v[132:133], s[36:37]
	v_mul_f64 v[237:238], v[108:109], s[24:25]
	v_add_f64 v[26:27], v[26:27], v[42:43]
	v_mul_f64 v[42:43], v[82:83], s[6:7]
	v_add_f64 v[46:47], v[12:13], v[46:47]
	v_add_f64 v[34:35], v[12:13], v[34:35]
	;; [unrolled: 1-line block ×4, first 2 shown]
	v_mul_f64 v[40:41], v[128:129], s[36:37]
	v_add_f64 v[44:45], v[14:15], v[44:45]
	v_add_f64 v[32:33], v[14:15], v[32:33]
	;; [unrolled: 1-line block ×5, first 2 shown]
	v_add_f64 v[124:125], v[146:147], -v[124:125]
	v_add_f64 v[148:149], v[233:234], v[148:149]
	v_mul_f64 v[233:234], v[122:123], s[28:29]
	v_add_f64 v[126:127], v[126:127], v[205:206]
	v_add_f64 v[130:131], v[213:214], -v[130:131]
	v_mul_f64 v[146:147], v[132:133], s[6:7]
	v_mul_f64 v[205:206], v[108:109], s[6:7]
	;; [unrolled: 1-line block ×3, first 2 shown]
	v_add_f64 v[38:39], v[231:232], v[38:39]
	v_add_f64 v[110:111], v[237:238], -v[110:111]
	v_add_f64 v[26:27], v[26:27], v[30:31]
	v_add_f64 v[24:25], v[24:25], v[28:29]
	v_fma_f64 v[30:31], v[78:79], s[40:41], v[40:41]
	v_fma_f64 v[40:41], v[78:79], s[38:39], v[40:41]
	;; [unrolled: 1-line block ×5, first 2 shown]
	v_fma_f64 v[70:71], v[76:77], s[6:7], -v[70:71]
	v_mul_f64 v[28:29], v[122:123], s[6:7]
	v_add_f64 v[36:37], v[148:149], v[36:37]
	v_add_f64 v[134:135], v[233:234], -v[134:135]
	v_add_f64 v[50:51], v[223:224], v[50:51]
	v_add_f64 v[62:63], v[130:131], v[62:63]
	v_mul_f64 v[233:234], v[152:153], s[28:29]
	v_add_f64 v[130:131], v[205:206], -v[188:189]
	v_add_f64 v[38:39], v[227:228], v[38:39]
	v_add_f64 v[22:23], v[26:27], v[22:23]
	v_mul_f64 v[26:27], v[182:183], s[6:7]
	v_add_f64 v[20:21], v[24:25], v[20:21]
	v_mul_f64 v[24:25], v[152:153], s[6:7]
	v_add_f64 v[44:45], v[78:79], v[44:45]
	v_add_f64 v[32:33], v[42:43], v[32:33]
	;; [unrolled: 1-line block ×4, first 2 shown]
	v_add_f64 v[28:29], v[28:29], -v[217:218]
	v_mul_f64 v[217:218], v[152:153], s[18:19]
	v_add_f64 v[36:37], v[235:236], v[36:37]
	v_mul_f64 v[78:79], v[184:185], s[6:7]
	v_mul_f64 v[68:69], v[162:163], s[28:29]
	;; [unrolled: 1-line block ×3, first 2 shown]
	v_add_f64 v[18:19], v[22:23], v[18:19]
	v_add_f64 v[26:27], v[219:220], v[26:27]
	v_mul_f64 v[22:23], v[184:185], s[36:37]
	v_add_f64 v[16:17], v[20:21], v[16:17]
	v_mul_f64 v[20:21], v[162:163], s[36:37]
	v_add_f64 v[24:25], v[24:25], -v[201:202]
	v_add_f64 v[30:31], v[30:31], v[44:45]
	v_add_f64 v[32:33], v[40:41], v[32:33]
	;; [unrolled: 1-line block ×3, first 2 shown]
	v_mul_f64 v[50:51], v[162:163], s[22:23]
	v_add_f64 v[78:79], v[174:175], v[78:79]
	v_add_f64 v[68:69], v[68:69], -v[154:155]
	v_add_f64 v[70:71], v[158:159], v[70:71]
	v_add_f64 v[10:11], v[18:19], v[10:11]
	;; [unrolled: 1-line block ×4, first 2 shown]
	v_add_f64 v[20:21], v[20:21], -v[178:179]
	v_add_f64 v[50:51], v[50:51], -v[193:194]
	s_waitcnt vmcnt(1)
	v_add_f64 v[66:67], v[66:67], v[74:75]
	scratch_load_b64 v[74:75], off, off offset:24 ; 8-byte Folded Reload
	v_add_f64 v[66:67], v[14:15], v[66:67]
	s_waitcnt vmcnt(0)
	v_add_f64 v[64:65], v[74:75], v[64:65]
	scratch_load_b64 v[74:75], off, off offset:8 ; 8-byte Folded Reload
	v_add_f64 v[72:73], v[84:85], -v[72:73]
	v_mul_f64 v[84:85], v[76:77], s[22:23]
	v_mul_f64 v[76:77], v[128:129], s[28:29]
	v_add_f64 v[14:15], v[14:15], v[64:65]
	v_mul_f64 v[64:65], v[128:129], s[24:25]
	v_add_f64 v[72:73], v[12:13], v[72:73]
	v_add_f64 v[84:85], v[84:85], -v[112:113]
	v_add_f64 v[76:77], v[136:137], v[76:77]
	v_mul_f64 v[112:113], v[108:109], s[28:29]
	v_mul_f64 v[136:137], v[182:183], s[22:23]
	v_add_f64 v[64:65], v[142:143], v[64:65]
	v_mul_f64 v[142:143], v[182:183], s[18:19]
	s_delay_alu instid0(VALU_DEP_4) | instskip(NEXT) | instid1(VALU_DEP_1)
	v_add_f64 v[112:113], v[112:113], -v[215:216]
	v_add_f64 v[38:39], v[112:113], v[38:39]
	s_delay_alu instid0(VALU_DEP_1) | instskip(SKIP_4) | instid1(VALU_DEP_3)
	v_add_f64 v[38:39], v[24:25], v[38:39]
	s_waitcnt vmcnt(0)
	v_add_f64 v[74:75], v[86:87], -v[74:75]
	v_mul_f64 v[86:87], v[82:83], s[22:23]
	v_mul_f64 v[82:83], v[82:83], s[36:37]
	v_add_f64 v[12:13], v[12:13], v[74:75]
	v_mul_f64 v[74:75], v[128:129], s[6:7]
	s_delay_alu instid0(VALU_DEP_3)
	v_add_f64 v[82:83], v[225:226], v[82:83]
	v_mul_f64 v[128:129], v[128:129], s[18:19]
	v_add_f64 v[86:87], v[120:121], v[86:87]
	v_mul_f64 v[225:226], v[132:133], s[24:25]
	v_fma_f64 v[120:121], v[122:123], s[36:37], v[80:81]
	v_fma_f64 v[80:81], v[122:123], s[36:37], -v[80:81]
	v_mul_f64 v[122:123], v[132:133], s[18:19]
	v_mul_f64 v[132:133], v[132:133], s[22:23]
	v_add_f64 v[12:13], v[84:85], v[12:13]
	v_add_f64 v[74:75], v[221:222], v[74:75]
	;; [unrolled: 1-line block ×8, first 2 shown]
	v_mul_f64 v[128:129], v[182:183], s[28:29]
	v_mul_f64 v[82:83], v[182:183], s[24:25]
	;; [unrolled: 1-line block ×3, first 2 shown]
	v_fma_f64 v[86:87], v[88:89], s[4:5], v[132:133]
	v_fma_f64 v[118:119], v[108:109], s[22:23], v[114:115]
	;; [unrolled: 1-line block ×3, first 2 shown]
	v_fma_f64 v[108:109], v[108:109], s[22:23], -v[114:115]
	v_add_f64 v[114:115], v[229:230], v[249:250]
	v_add_f64 v[122:123], v[209:210], v[122:123]
	;; [unrolled: 1-line block ×4, first 2 shown]
	v_add_f64 v[138:139], v[241:242], -v[176:177]
	v_add_f64 v[44:45], v[120:121], v[46:47]
	v_add_f64 v[124:125], v[213:214], -v[207:208]
	v_add_f64 v[34:35], v[80:81], v[34:35]
	v_mul_f64 v[221:222], v[182:183], s[36:37]
	v_add_f64 v[116:117], v[116:117], v[225:226]
	v_mul_f64 v[72:73], v[162:163], s[6:7]
	v_add_f64 v[120:121], v[172:173], v[136:137]
	v_add_f64 v[136:137], v[217:218], -v[164:165]
	v_add_f64 v[12:13], v[104:105], v[12:13]
	v_add_f64 v[40:41], v[74:75], v[42:43]
	;; [unrolled: 1-line block ×7, first 2 shown]
	v_mul_f64 v[66:67], v[184:185], s[24:25]
	v_fma_f64 v[80:81], v[90:91], s[26:27], v[82:83]
	v_fma_f64 v[82:83], v[90:91], s[20:21], v[82:83]
	v_add_f64 v[90:91], v[197:198], v[128:129]
	v_add_f64 v[134:135], v[166:167], v[142:143]
	v_add_f64 v[128:129], v[245:246], -v[168:169]
	v_mul_f64 v[62:63], v[184:185], s[22:23]
	v_add_f64 v[36:37], v[114:115], v[36:37]
	v_mul_f64 v[74:75], v[184:185], s[18:19]
	v_mul_f64 v[76:77], v[160:161], s[30:31]
	v_fma_f64 v[104:105], v[152:153], s[24:25], v[84:85]
	v_add_f64 v[106:107], v[233:234], -v[195:196]
	v_add_f64 v[30:31], v[86:87], v[30:31]
	v_add_f64 v[44:45], v[118:119], v[44:45]
	;; [unrolled: 1-line block ×3, first 2 shown]
	v_mul_f64 v[64:65], v[162:163], s[24:25]
	v_fma_f64 v[84:85], v[152:153], s[24:25], -v[84:85]
	v_add_f64 v[32:33], v[88:89], v[32:33]
	v_add_f64 v[34:35], v[108:109], v[34:35]
	;; [unrolled: 1-line block ×3, first 2 shown]
	v_add_f64 v[142:143], v[247:248], -v[150:151]
	v_add_f64 v[72:73], v[72:73], -v[170:171]
	v_add_f64 v[12:13], v[110:111], v[12:13]
	v_add_f64 v[40:41], v[122:123], v[40:41]
	;; [unrolled: 1-line block ×10, first 2 shown]
	v_fma_f64 v[16:17], v[144:145], s[2:3], v[74:75]
	v_fma_f64 v[18:19], v[162:163], s[18:19], v[76:77]
	;; [unrolled: 1-line block ×3, first 2 shown]
	v_fma_f64 v[76:77], v[162:163], s[18:19], -v[76:77]
	v_add_f64 v[30:31], v[80:81], v[30:31]
	v_add_f64 v[44:45], v[104:105], v[44:45]
	;; [unrolled: 1-line block ×3, first 2 shown]
	v_add_f64 v[64:65], v[64:65], -v[203:204]
	v_add_f64 v[80:81], v[10:11], v[6:7]
	v_add_f64 v[32:33], v[82:83], v[32:33]
	;; [unrolled: 1-line block ×20, first 2 shown]
	v_mul_lo_u16 v32, v192, 13
	s_delay_alu instid0(VALU_DEP_1) | instskip(SKIP_1) | instid1(VALU_DEP_2)
	v_and_b32_e32 v32, 0xffff, v32
	v_add_f64 v[28:29], v[68:69], v[84:85]
	v_lshlrev_b32_e32 v32, 4, v32
	v_add_f64 v[18:19], v[62:63], v[36:37]
	v_add_f64 v[22:23], v[22:23], v[40:41]
	;; [unrolled: 1-line block ×6, first 2 shown]
	ds_store_b128 v32, v[52:55] offset:128
	ds_store_b128 v32, v[56:59] offset:144
	;; [unrolled: 1-line block ×10, first 2 shown]
	ds_store_b128 v32, v[0:3]
	ds_store_b128 v32, v[28:31] offset:16
	ds_store_b128 v32, v[100:103] offset:192
.LBB0_7:
	s_or_b32 exec_lo, exec_lo, s0
	s_waitcnt lgkmcnt(0)
	s_barrier
	buffer_gl0_inv
	ds_load_b128 v[20:23], v255
	ds_load_b128 v[28:31], v255 offset:2912
	ds_load_b128 v[40:43], v255 offset:13104
	;; [unrolled: 1-line block ×7, first 2 shown]
	v_cmp_gt_u16_e64 s0, 0x5b, v192
	s_delay_alu instid0(VALU_DEP_1)
	s_and_saveexec_b32 s1, s0
	s_cbranch_execz .LBB0_9
; %bb.8:
	ds_load_b128 v[52:55], v255 offset:11648
	ds_load_b128 v[56:59], v255 offset:24752
.LBB0_9:
	s_or_b32 exec_lo, exec_lo, s1
	v_add_co_u32 v148, s1, 0xb6, v192
	s_delay_alu instid0(VALU_DEP_1) | instskip(SKIP_4) | instid1(VALU_DEP_4)
	v_add_co_ci_u32_e64 v149, null, 0, 0, s1
	v_add_co_u32 v150, s1, 0x16c, v192
	v_add_co_u32 v0, null, 0x222, v192
	v_and_b32_e32 v1, 0xff, v192
	v_and_b32_e32 v2, 0xffff, v148
	;; [unrolled: 1-line block ×3, first 2 shown]
	s_delay_alu instid0(VALU_DEP_4) | instskip(SKIP_4) | instid1(VALU_DEP_3)
	v_and_b32_e32 v4, 0xffff, v0
	v_add_co_ci_u32_e64 v151, null, 0, 0, s1
	v_mul_lo_u16 v1, 0x4f, v1
	v_mul_u32_u24_e32 v61, 0x4ec5, v2
	v_mul_u32_u24_e32 v60, 0x4ec5, v3
	v_lshrrev_b16 v78, 10, v1
	v_mul_u32_u24_e32 v1, 0x4ec5, v4
	s_delay_alu instid0(VALU_DEP_4) | instskip(NEXT) | instid1(VALU_DEP_4)
	v_lshrrev_b32_e32 v79, 18, v61
	v_lshrrev_b32_e32 v80, 18, v60
	s_delay_alu instid0(VALU_DEP_4) | instskip(NEXT) | instid1(VALU_DEP_4)
	v_mul_lo_u16 v2, v78, 13
	v_lshrrev_b32_e32 v81, 18, v1
	s_delay_alu instid0(VALU_DEP_4) | instskip(NEXT) | instid1(VALU_DEP_4)
	v_mul_lo_u16 v1, v79, 13
	v_mul_lo_u16 v3, v80, 13
	s_delay_alu instid0(VALU_DEP_4) | instskip(NEXT) | instid1(VALU_DEP_4)
	v_sub_nc_u16 v2, v192, v2
	v_mul_lo_u16 v4, v81, 13
	s_delay_alu instid0(VALU_DEP_4) | instskip(NEXT) | instid1(VALU_DEP_4)
	v_sub_nc_u16 v82, v148, v1
	v_sub_nc_u16 v83, v150, v3
	s_delay_alu instid0(VALU_DEP_4) | instskip(NEXT) | instid1(VALU_DEP_4)
	v_and_b32_e32 v84, 0xff, v2
	v_sub_nc_u16 v85, v0, v4
	s_delay_alu instid0(VALU_DEP_4) | instskip(NEXT) | instid1(VALU_DEP_4)
	v_and_b32_e32 v0, 0xffff, v82
	v_and_b32_e32 v1, 0xffff, v83
	s_delay_alu instid0(VALU_DEP_4) | instskip(NEXT) | instid1(VALU_DEP_4)
	v_lshlrev_b32_e32 v2, 4, v84
	v_and_b32_e32 v3, 0xffff, v85
	s_delay_alu instid0(VALU_DEP_4) | instskip(NEXT) | instid1(VALU_DEP_4)
	v_lshlrev_b32_e32 v0, 4, v0
	v_lshlrev_b32_e32 v1, 4, v1
	global_load_b128 v[8:11], v2, s[8:9]
	v_lshlrev_b32_e32 v2, 4, v3
	s_clause 0x1
	global_load_b128 v[12:15], v0, s[8:9]
	global_load_b128 v[4:7], v1, s[8:9]
	v_add_nc_u16 v0, v192, 0x2d8
	s_load_b128 s[4:7], s[10:11], 0x0
	global_load_b128 v[24:27], v2, s[8:9]
	v_and_b32_e32 v1, 0xffff, v0
	s_delay_alu instid0(VALU_DEP_1) | instskip(NEXT) | instid1(VALU_DEP_1)
	v_mul_u32_u24_e32 v1, 0x4ec5, v1
	v_lshrrev_b32_e32 v86, 18, v1
	s_delay_alu instid0(VALU_DEP_1) | instskip(NEXT) | instid1(VALU_DEP_1)
	v_mul_lo_u16 v1, v86, 13
	v_sub_nc_u16 v87, v0, v1
	s_delay_alu instid0(VALU_DEP_1) | instskip(NEXT) | instid1(VALU_DEP_1)
	v_and_b32_e32 v0, 0xffff, v87
	v_lshlrev_b32_e32 v0, 4, v0
	global_load_b128 v[0:3], v0, s[8:9]
	s_waitcnt vmcnt(4) lgkmcnt(0)
	v_mul_f64 v[62:63], v[42:43], v[10:11]
	v_mul_f64 v[64:65], v[40:41], v[10:11]
	s_waitcnt vmcnt(2)
	v_mul_f64 v[70:71], v[50:51], v[6:7]
	v_mul_f64 v[72:73], v[48:49], v[6:7]
	v_mul_f64 v[66:67], v[38:39], v[14:15]
	v_mul_f64 v[68:69], v[36:37], v[14:15]
	s_waitcnt vmcnt(1)
	v_mul_f64 v[74:75], v[46:47], v[26:27]
	v_mul_f64 v[76:77], v[44:45], v[26:27]
	v_fma_f64 v[40:41], v[40:41], v[8:9], -v[62:63]
	v_fma_f64 v[42:43], v[42:43], v[8:9], v[64:65]
	v_fma_f64 v[48:49], v[48:49], v[4:5], -v[70:71]
	v_fma_f64 v[50:51], v[50:51], v[4:5], v[72:73]
	v_fma_f64 v[62:63], v[36:37], v[12:13], -v[66:67]
	s_waitcnt vmcnt(0)
	v_mul_f64 v[70:71], v[58:59], v[2:3]
	v_mul_f64 v[72:73], v[56:57], v[2:3]
	v_fma_f64 v[64:65], v[38:39], v[12:13], v[68:69]
	v_fma_f64 v[66:67], v[44:45], v[24:25], -v[74:75]
	v_fma_f64 v[68:69], v[46:47], v[24:25], v[76:77]
	v_add_f64 v[36:37], v[20:21], -v[40:41]
	v_add_f64 v[38:39], v[22:23], -v[42:43]
	;; [unrolled: 1-line block ×5, first 2 shown]
	v_fma_f64 v[56:57], v[56:57], v[0:1], -v[70:71]
	v_fma_f64 v[58:59], v[58:59], v[0:1], v[72:73]
	v_add_f64 v[42:43], v[30:31], -v[64:65]
	v_add_f64 v[48:49], v[16:17], -v[66:67]
	;; [unrolled: 1-line block ×3, first 2 shown]
	v_fma_f64 v[20:21], v[20:21], 2.0, -v[36:37]
	v_fma_f64 v[22:23], v[22:23], 2.0, -v[38:39]
	;; [unrolled: 1-line block ×5, first 2 shown]
	v_add_f64 v[104:105], v[52:53], -v[56:57]
	v_add_f64 v[106:107], v[54:55], -v[58:59]
	v_fma_f64 v[30:31], v[30:31], 2.0, -v[42:43]
	v_fma_f64 v[16:17], v[16:17], 2.0, -v[48:49]
	;; [unrolled: 1-line block ×3, first 2 shown]
	v_and_b32_e32 v56, 0xffff, v78
	v_mad_u16 v57, v79, 26, v82
	v_mad_u16 v58, v80, 26, v83
	;; [unrolled: 1-line block ×3, first 2 shown]
	s_delay_alu instid0(VALU_DEP_4) | instskip(NEXT) | instid1(VALU_DEP_1)
	v_mul_u32_u24_e32 v56, 26, v56
	v_add_lshl_u32 v62, v56, v84, 4
	v_mad_u16 v56, v86, 26, v87
	scratch_store_b32 off, v56, off offset:24 ; 4-byte Folded Spill
	v_and_b32_e32 v56, 0xffff, v57
	v_and_b32_e32 v57, 0xffff, v58
	;; [unrolled: 1-line block ×3, first 2 shown]
	s_waitcnt_vscnt null, 0x0
	s_barrier
	v_lshlrev_b32_e32 v59, 4, v56
	v_lshlrev_b32_e32 v57, 4, v57
	;; [unrolled: 1-line block ×3, first 2 shown]
	buffer_gl0_inv
	scratch_store_b32 off, v62, off offset:40 ; 4-byte Folded Spill
	ds_store_b128 v62, v[20:23]
	ds_store_b128 v62, v[36:39] offset:208
	ds_store_b128 v59, v[28:31]
	scratch_store_b32 off, v59, off offset:52 ; 4-byte Folded Spill
	ds_store_b128 v59, v[40:43] offset:208
	ds_store_b128 v57, v[32:35]
	scratch_store_b32 off, v57, off offset:48 ; 4-byte Folded Spill
	;; [unrolled: 3-line block ×3, first 2 shown]
	ds_store_b128 v56, v[48:51] offset:208
	s_and_saveexec_b32 s1, s0
	s_cbranch_execz .LBB0_11
; %bb.10:
	scratch_load_b32 v20, off, off offset:24 ; 4-byte Folded Reload
	v_fma_f64 v[18:19], v[54:55], 2.0, -v[106:107]
	v_fma_f64 v[16:17], v[52:53], 2.0, -v[104:105]
	s_waitcnt vmcnt(0)
	v_and_b32_e32 v20, 0xffff, v20
	s_delay_alu instid0(VALU_DEP_1)
	v_lshlrev_b32_e32 v20, 4, v20
	ds_store_b128 v20, v[16:19]
	ds_store_b128 v20, v[104:107] offset:208
.LBB0_11:
	s_or_b32 exec_lo, exec_lo, s1
	v_and_b32_e32 v16, 0xff, v192
	v_lshrrev_b32_e32 v126, 19, v61
	v_lshrrev_b32_e32 v127, 19, v60
	s_waitcnt lgkmcnt(0)
	s_waitcnt_vscnt null, 0x0
	s_barrier
	v_mul_lo_u16 v16, 0x4f, v16
	v_mul_lo_u16 v17, v126, 26
	buffer_gl0_inv
	s_mov_b32 s2, 0xe8584caa
	s_mov_b32 s3, 0x3febb67a
	v_lshrrev_b16 v128, 11, v16
	v_sub_nc_u16 v129, v148, v17
	v_mul_lo_u16 v16, v127, 26
	s_mov_b32 s11, 0xbfebb67a
	s_mov_b32 s10, s2
	v_mul_lo_u16 v17, v128, 26
	v_lshlrev_b16 v18, 5, v129
	v_sub_nc_u16 v130, v150, v16
                                        ; implicit-def: $vgpr144_vgpr145
	s_delay_alu instid0(VALU_DEP_3) | instskip(NEXT) | instid1(VALU_DEP_3)
	v_sub_nc_u16 v16, v192, v17
	v_and_b32_e32 v17, 0xffff, v18
	s_delay_alu instid0(VALU_DEP_3) | instskip(NEXT) | instid1(VALU_DEP_3)
	v_lshlrev_b16 v18, 5, v130
	v_and_b32_e32 v131, 0xff, v16
	s_delay_alu instid0(VALU_DEP_3) | instskip(NEXT) | instid1(VALU_DEP_1)
	v_add_co_u32 v16, s1, s8, v17
	v_add_co_ci_u32_e64 v17, null, s9, 0, s1
	s_delay_alu instid0(VALU_DEP_4) | instskip(NEXT) | instid1(VALU_DEP_4)
	v_and_b32_e32 v18, 0xffff, v18
	v_lshlrev_b32_e32 v19, 5, v131
	s_clause 0x3
	global_load_b128 v[44:47], v[16:17], off offset:224
	global_load_b128 v[48:51], v[16:17], off offset:208
	global_load_b128 v[52:55], v19, s[8:9] offset:224
	global_load_b128 v[56:59], v19, s[8:9] offset:208
	v_add_co_u32 v16, s1, s8, v18
	s_delay_alu instid0(VALU_DEP_1)
	v_add_co_ci_u32_e64 v17, null, s9, 0, s1
	v_cmp_gt_u16_e64 s1, 52, v192
	s_clause 0x1
	global_load_b128 v[64:67], v[16:17], off offset:208
	global_load_b128 v[60:63], v[16:17], off offset:224
	ds_load_b128 v[16:19], v255 offset:11648
	ds_load_b128 v[20:23], v255 offset:20384
	;; [unrolled: 1-line block ×7, first 2 shown]
	s_waitcnt vmcnt(5) lgkmcnt(5)
	v_mul_f64 v[74:75], v[22:23], v[46:47]
	s_waitcnt vmcnt(4)
	v_mul_f64 v[72:73], v[18:19], v[50:51]
	s_waitcnt vmcnt(3) lgkmcnt(3)
	v_mul_f64 v[78:79], v[34:35], v[54:55]
	s_waitcnt vmcnt(2)
	v_mul_f64 v[76:77], v[30:31], v[58:59]
	v_mul_f64 v[80:81], v[28:29], v[58:59]
	;; [unrolled: 1-line block ×5, first 2 shown]
	s_waitcnt vmcnt(1) lgkmcnt(2)
	v_mul_f64 v[88:89], v[38:39], v[66:67]
	s_waitcnt vmcnt(0) lgkmcnt(1)
	v_mul_f64 v[90:91], v[42:43], v[62:63]
	v_mul_f64 v[108:109], v[36:37], v[66:67]
	;; [unrolled: 1-line block ×3, first 2 shown]
	v_fma_f64 v[74:75], v[20:21], v[44:45], -v[74:75]
	v_fma_f64 v[72:73], v[16:17], v[48:49], -v[72:73]
	;; [unrolled: 1-line block ×4, first 2 shown]
	v_fma_f64 v[30:31], v[30:31], v[56:57], v[80:81]
	v_fma_f64 v[34:35], v[34:35], v[52:53], v[82:83]
	;; [unrolled: 1-line block ×4, first 2 shown]
	ds_load_b128 v[16:19], v255 offset:2912
	ds_load_b128 v[20:23], v255
	s_waitcnt lgkmcnt(0)
	v_fma_f64 v[36:37], v[36:37], v[64:65], -v[88:89]
	v_fma_f64 v[40:41], v[40:41], v[60:61], -v[90:91]
	v_fma_f64 v[38:39], v[38:39], v[64:65], v[108:109]
	v_fma_f64 v[42:43], v[42:43], v[60:61], v[110:111]
	s_barrier
	buffer_gl0_inv
	v_add_f64 v[80:81], v[72:73], v[74:75]
	v_add_f64 v[108:109], v[16:17], v[72:73]
	v_add_f64 v[82:83], v[28:29], v[32:33]
	v_add_f64 v[116:117], v[20:21], v[28:29]
	v_add_f64 v[84:85], v[30:31], v[34:35]
	v_add_f64 v[118:119], v[22:23], v[30:31]
	v_add_f64 v[86:87], v[76:77], v[78:79]
	v_add_f64 v[110:111], v[76:77], -v[78:79]
	v_add_f64 v[120:121], v[30:31], -v[34:35]
	v_add_f64 v[112:113], v[68:69], v[36:37]
	v_add_f64 v[88:89], v[36:37], v[40:41]
	;; [unrolled: 1-line block ×4, first 2 shown]
	v_add_f64 v[122:123], v[28:29], -v[32:33]
	v_add_f64 v[124:125], v[72:73], -v[74:75]
	;; [unrolled: 1-line block ×4, first 2 shown]
	v_add_f64 v[76:77], v[18:19], v[76:77]
	v_fma_f64 v[80:81], v[80:81], -0.5, v[16:17]
	v_add_f64 v[16:17], v[108:109], v[74:75]
	v_fma_f64 v[82:83], v[82:83], -0.5, v[20:21]
	;; [unrolled: 2-line block ×6, first 2 shown]
	v_add_f64 v[18:19], v[76:77], v[78:79]
	v_fma_f64 v[40:41], v[110:111], s[10:11], v[80:81]
	v_fma_f64 v[32:33], v[110:111], s[2:3], v[80:81]
	;; [unrolled: 1-line block ×12, first 2 shown]
	v_mad_u16 v36, 0x4e, v126, v129
	v_and_b32_e32 v37, 0xffff, v128
	v_mad_u16 v38, 0x4e, v127, v130
	s_delay_alu instid0(VALU_DEP_3) | instskip(NEXT) | instid1(VALU_DEP_3)
	v_and_b32_e32 v36, 0xffff, v36
	v_mul_u32_u24_e32 v37, 0x4e, v37
	s_delay_alu instid0(VALU_DEP_3) | instskip(NEXT) | instid1(VALU_DEP_3)
	v_and_b32_e32 v38, 0xffff, v38
	v_lshlrev_b32_e32 v39, 4, v36
	s_delay_alu instid0(VALU_DEP_3) | instskip(NEXT) | instid1(VALU_DEP_3)
	v_add_lshl_u32 v37, v37, v131, 4
	v_lshlrev_b32_e32 v36, 4, v38
	ds_store_b128 v37, v[28:31]
	ds_store_b128 v37, v[68:71] offset:416
	scratch_store_b32 off, v37, off offset:64 ; 4-byte Folded Spill
	ds_store_b128 v37, v[72:75] offset:832
	ds_store_b128 v39, v[16:19]
	ds_store_b128 v39, v[32:35] offset:416
	scratch_store_b32 off, v39, off offset:60 ; 4-byte Folded Spill
	ds_store_b128 v39, v[40:43] offset:832
	;; [unrolled: 4-line block ×3, first 2 shown]
	s_waitcnt lgkmcnt(0)
	s_waitcnt_vscnt null, 0x0
	s_barrier
	buffer_gl0_inv
	ds_load_b128 v[112:115], v255
	ds_load_b128 v[136:139], v255 offset:3744
	ds_load_b128 v[132:135], v255 offset:7488
	;; [unrolled: 1-line block ×6, first 2 shown]
	s_and_saveexec_b32 s2, s1
	s_cbranch_execz .LBB0_13
; %bb.12:
	ds_load_b128 v[108:111], v255 offset:2912
	ds_load_b128 v[116:119], v255 offset:6656
	;; [unrolled: 1-line block ×7, first 2 shown]
.LBB0_13:
	s_or_b32 exec_lo, exec_lo, s2
	v_lshrrev_b16 v16, 1, v192
	v_lshrrev_b16 v17, 1, v148
	s_mov_b32 s10, 0x36b3c0b5
	s_mov_b32 s16, 0xe976ee23
	;; [unrolled: 1-line block ×3, first 2 shown]
	v_and_b32_e32 v16, 0x7f, v16
	v_and_b32_e32 v17, 0xffff, v17
	s_mov_b32 s11, 0x3fac98ee
	s_mov_b32 s17, 0xbfe11646
	;; [unrolled: 1-line block ×3, first 2 shown]
	v_mul_lo_u16 v16, 0xd3, v16
	s_mov_b32 s22, 0xb247c609
	s_mov_b32 s21, 0xbfe77f67
	;; [unrolled: 1-line block ×4, first 2 shown]
	v_lshrrev_b16 v39, 13, v16
	v_mul_u32_u24_e32 v16, 0x6907, v17
	s_mov_b32 s24, s22
	s_delay_alu instid0(VALU_DEP_2) | instskip(NEXT) | instid1(VALU_DEP_2)
	v_mul_lo_u16 v17, 0x4e, v39
	v_lshrrev_b32_e32 v16, 20, v16
	s_delay_alu instid0(VALU_DEP_2) | instskip(NEXT) | instid1(VALU_DEP_2)
	v_sub_nc_u16 v17, v192, v17
	v_mul_lo_u16 v16, 0x4e, v16
	s_delay_alu instid0(VALU_DEP_2) | instskip(NEXT) | instid1(VALU_DEP_2)
	v_and_b32_e32 v40, 0xff, v17
	v_sub_nc_u16 v28, v148, v16
	s_delay_alu instid0(VALU_DEP_2) | instskip(NEXT) | instid1(VALU_DEP_2)
	v_mad_u64_u32 v[16:17], null, 0x60, v40, s[8:9]
	v_mul_lo_u16 v18, 0x60, v28
	v_and_b32_e32 v28, 0xffff, v28
	s_clause 0x3
	global_load_b128 v[80:83], v[16:17], off offset:1040
	global_load_b128 v[76:79], v[16:17], off offset:1056
	;; [unrolled: 1-line block ×4, first 2 shown]
	v_and_b32_e32 v18, 0xffff, v18
	s_delay_alu instid0(VALU_DEP_1) | instskip(NEXT) | instid1(VALU_DEP_1)
	v_add_co_u32 v18, s2, s8, v18
	v_add_co_ci_u32_e64 v19, null, s9, 0, s2
	s_clause 0x7
	global_load_b128 v[178:181], v[18:19], off offset:1040
	global_load_b128 v[174:177], v[18:19], off offset:1056
	global_load_b128 v[182:185], v[18:19], off offset:1120
	global_load_b128 v[197:200], v[18:19], off offset:1104
	global_load_b128 v[88:91], v[16:17], off offset:1072
	global_load_b128 v[84:87], v[16:17], off offset:1088
	global_load_b128 v[193:196], v[18:19], off offset:1072
	global_load_b128 v[186:189], v[18:19], off offset:1088
	s_mov_b32 s2, 0x37e14327
	s_mov_b32 s3, 0x3fe948f6
	scratch_store_b32 off, v28, off offset:68 ; 4-byte Folded Spill
	s_waitcnt vmcnt(11) lgkmcnt(5)
	v_mul_f64 v[16:17], v[138:139], v[82:83]
	v_mul_f64 v[18:19], v[136:137], v[82:83]
	s_waitcnt vmcnt(10) lgkmcnt(4)
	v_mul_f64 v[20:21], v[134:135], v[78:79]
	v_mul_f64 v[22:23], v[132:133], v[78:79]
	;; [unrolled: 3-line block ×3, first 2 shown]
	s_waitcnt vmcnt(8)
	v_mul_f64 v[33:34], v[130:131], v[70:71]
	v_mul_f64 v[35:36], v[128:129], v[70:71]
	s_waitcnt vmcnt(7)
	v_mul_f64 v[37:38], v[118:119], v[180:181]
	v_mul_f64 v[152:153], v[116:117], v[180:181]
	;; [unrolled: 3-line block ×7, first 2 shown]
	s_clause 0x2
	scratch_store_b128 off, v[178:181], off offset:88
	scratch_store_b128 off, v[174:177], off offset:72
	;; [unrolled: 1-line block ×3, first 2 shown]
	s_waitcnt vmcnt(0)
	s_clause 0x2
	scratch_store_b128 off, v[186:189], off offset:120
	scratch_store_b128 off, v[197:200], off offset:152
	;; [unrolled: 1-line block ×3, first 2 shown]
	v_fma_f64 v[16:17], v[136:137], v[80:81], -v[16:17]
	v_fma_f64 v[18:19], v[138:139], v[80:81], v[18:19]
	v_fma_f64 v[20:21], v[132:133], v[76:77], -v[20:21]
	v_fma_f64 v[22:23], v[134:135], v[76:77], v[22:23]
	;; [unrolled: 2-line block ×4, first 2 shown]
	v_mul_f64 v[128:129], v[94:95], v[195:196]
	v_mul_f64 v[130:131], v[92:93], v[195:196]
	;; [unrolled: 1-line block ×4, first 2 shown]
	v_fma_f64 v[37:38], v[116:117], v[178:179], -v[37:38]
	v_fma_f64 v[116:117], v[118:119], v[178:179], v[152:153]
	v_fma_f64 v[104:105], v[104:105], v[174:175], -v[154:155]
	v_fma_f64 v[106:107], v[106:107], v[174:175], v[156:157]
	;; [unrolled: 2-line block ×6, first 2 shown]
	v_add_f64 v[138:139], v[16:17], v[29:30]
	v_add_f64 v[140:141], v[18:19], v[31:32]
	;; [unrolled: 1-line block ×4, first 2 shown]
	v_fma_f64 v[92:93], v[92:93], v[193:194], -v[128:129]
	v_fma_f64 v[94:95], v[94:95], v[193:194], v[130:131]
	v_fma_f64 v[96:97], v[96:97], v[186:187], -v[132:133]
	v_fma_f64 v[98:99], v[98:99], v[186:187], v[134:135]
	v_add_f64 v[20:21], v[20:21], -v[33:34]
	v_add_f64 v[22:23], v[22:23], -v[35:36]
	;; [unrolled: 1-line block ×4, first 2 shown]
	v_add_f64 v[128:129], v[37:38], v[118:119]
	v_add_f64 v[130:131], v[116:117], v[136:137]
	;; [unrolled: 1-line block ×4, first 2 shown]
	v_add_f64 v[100:101], v[104:105], -v[100:101]
	v_add_f64 v[102:103], v[106:107], -v[102:103]
	v_add_f64 v[33:34], v[124:125], v[120:121]
	v_add_f64 v[35:36], v[126:127], v[122:123]
	v_add_f64 v[120:121], v[120:121], -v[124:125]
	v_add_f64 v[122:123], v[122:123], -v[126:127]
	;; [unrolled: 1-line block ×3, first 2 shown]
	v_add_f64 v[29:30], v[142:143], v[138:139]
	v_add_f64 v[31:32], v[144:145], v[140:141]
	;; [unrolled: 1-line block ×4, first 2 shown]
	v_add_f64 v[92:93], v[96:97], -v[92:93]
	v_add_f64 v[94:95], v[98:99], -v[94:95]
	;; [unrolled: 1-line block ×5, first 2 shown]
	v_add_f64 v[98:99], v[132:133], v[128:129]
	v_add_f64 v[116:117], v[134:135], v[130:131]
	v_add_f64 v[118:119], v[138:139], -v[33:34]
	v_add_f64 v[124:125], v[140:141], -v[35:36]
	;; [unrolled: 1-line block ×7, first 2 shown]
	v_add_f64 v[20:21], v[120:121], v[20:21]
	v_add_f64 v[22:23], v[122:123], v[22:23]
	v_add_f64 v[120:121], v[16:17], -v[120:121]
	v_add_f64 v[122:123], v[18:19], -v[122:123]
	v_add_f64 v[154:155], v[33:34], v[29:30]
	v_add_f64 v[156:157], v[35:36], v[31:32]
	v_add_f64 v[33:34], v[33:34], -v[142:143]
	v_add_f64 v[35:36], v[35:36], -v[144:145]
	v_add_f64 v[158:159], v[128:129], -v[104:105]
	v_add_f64 v[160:161], v[130:131], -v[106:107]
	v_add_f64 v[162:163], v[92:93], -v[100:101]
	v_add_f64 v[164:165], v[94:95], -v[102:103]
	v_add_f64 v[168:169], v[102:103], -v[96:97]
	v_add_f64 v[100:101], v[92:93], v[100:101]
	v_add_f64 v[102:103], v[94:95], v[102:103]
	v_add_f64 v[128:129], v[132:133], -v[128:129]
	v_add_f64 v[98:99], v[104:105], v[98:99]
	v_add_f64 v[116:117], v[106:107], v[116:117]
	v_add_f64 v[104:105], v[104:105], -v[132:133]
	v_add_f64 v[106:107], v[106:107], -v[134:135]
	v_mul_f64 v[118:119], v[118:119], s[2:3]
	v_mul_f64 v[124:125], v[124:125], s[2:3]
	;; [unrolled: 1-line block ×4, first 2 shown]
	v_add_f64 v[130:131], v[134:135], -v[130:131]
	v_mul_f64 v[132:133], v[146:147], s[18:19]
	v_mul_f64 v[134:135], v[152:153], s[18:19]
	;; [unrolled: 1-line block ×3, first 2 shown]
	v_add_f64 v[16:17], v[20:21], v[16:17]
	v_add_f64 v[18:19], v[22:23], v[18:19]
	;; [unrolled: 1-line block ×4, first 2 shown]
	v_add_f64 v[112:113], v[37:38], -v[92:93]
	v_add_f64 v[114:115], v[96:97], -v[94:95]
	v_mul_f64 v[142:143], v[33:34], s[10:11]
	v_mul_f64 v[144:145], v[35:36], s[10:11]
	;; [unrolled: 1-line block ×7, first 2 shown]
	s_mov_b32 s2, 0xaaaaaaaa
	v_add_f64 v[92:93], v[108:109], v[98:99]
	v_add_f64 v[94:95], v[110:111], v[116:117]
	v_mul_f64 v[108:109], v[104:105], s[10:11]
	v_mul_f64 v[110:111], v[106:107], s[10:11]
	s_mov_b32 s16, 0x5476071b
	s_mov_b32 s3, 0xbff2aaaa
	;; [unrolled: 1-line block ×4, first 2 shown]
	v_add_f64 v[20:21], v[100:101], v[37:38]
	v_add_f64 v[22:23], v[102:103], v[96:97]
	v_fma_f64 v[33:34], v[33:34], s[10:11], v[118:119]
	v_fma_f64 v[35:36], v[35:36], s[10:11], v[124:125]
	v_fma_f64 v[37:38], v[120:121], s[22:23], v[126:127]
	v_fma_f64 v[96:97], v[122:123], s[22:23], v[136:137]
	v_fma_f64 v[100:101], v[146:147], s[18:19], -v[126:127]
	v_fma_f64 v[102:103], v[152:153], s[18:19], -v[136:137]
	;; [unrolled: 1-line block ×6, first 2 shown]
	v_fma_f64 v[126:127], v[154:155], s[2:3], v[29:30]
	v_fma_f64 v[132:133], v[156:157], s[2:3], v[31:32]
	v_fma_f64 v[146:147], v[112:113], s[24:25], -v[170:171]
	v_fma_f64 v[134:135], v[138:139], s[16:17], -v[142:143]
	;; [unrolled: 1-line block ×8, first 2 shown]
	v_fma_f64 v[112:113], v[112:113], s[22:23], v[162:163]
	v_fma_f64 v[98:99], v[98:99], s[2:3], v[92:93]
	;; [unrolled: 1-line block ×3, first 2 shown]
	v_fma_f64 v[108:109], v[128:129], s[16:17], -v[108:109]
	v_fma_f64 v[110:111], v[130:131], s[16:17], -v[110:111]
	v_fma_f64 v[114:115], v[114:115], s[22:23], v[164:165]
	v_fma_f64 v[104:105], v[104:105], s[10:11], v[158:159]
	;; [unrolled: 1-line block ×3, first 2 shown]
	s_mov_b32 s2, 0x37c3f68c
	s_mov_b32 s3, 0x3fdc38aa
	s_delay_alu instid0(SALU_CYCLE_1)
	v_fma_f64 v[37:38], v[16:17], s[2:3], v[37:38]
	v_fma_f64 v[128:129], v[18:19], s[2:3], v[96:97]
	;; [unrolled: 1-line block ×6, first 2 shown]
	v_add_f64 v[156:157], v[33:34], v[126:127]
	v_add_f64 v[158:159], v[35:36], v[132:133]
	;; [unrolled: 1-line block ×6, first 2 shown]
	v_fma_f64 v[136:137], v[20:21], s[2:3], v[142:143]
	v_fma_f64 v[142:143], v[22:23], s[2:3], v[144:145]
	;; [unrolled: 1-line block ×4, first 2 shown]
	v_add_f64 v[138:139], v[138:139], v[98:99]
	v_add_f64 v[140:141], v[140:141], v[116:117]
	;; [unrolled: 1-line block ×4, first 2 shown]
	v_fma_f64 v[20:21], v[20:21], s[2:3], v[112:113]
	v_fma_f64 v[16:17], v[22:23], s[2:3], v[114:115]
	v_add_f64 v[18:19], v[104:105], v[98:99]
	v_add_f64 v[22:23], v[106:107], v[116:117]
	v_add_f64 v[33:34], v[128:129], v[156:157]
	v_add_f64 v[112:113], v[156:157], -v[128:129]
	v_add_f64 v[96:97], v[122:123], v[118:119]
	v_add_f64 v[98:99], v[124:125], -v[120:121]
	v_add_f64 v[100:101], v[126:127], -v[154:155]
	v_add_f64 v[102:103], v[130:131], v[132:133]
	v_add_f64 v[104:105], v[154:155], v[126:127]
	v_add_f64 v[106:107], v[132:133], -v[130:131]
	v_add_f64 v[108:109], v[118:119], -v[122:123]
	v_add_f64 v[110:111], v[120:121], v[124:125]
	v_add_f64 v[35:36], v[158:159], -v[37:38]
	v_add_f64 v[114:115], v[37:38], v[158:159]
	v_add_f64 v[132:133], v[146:147], v[138:139]
	v_add_f64 v[134:135], v[140:141], -v[144:145]
	v_add_f64 v[128:129], v[152:153], -v[142:143]
	v_add_f64 v[130:131], v[136:137], v[160:161]
	v_add_f64 v[124:125], v[142:143], v[152:153]
	v_add_f64 v[126:127], v[160:161], -v[136:137]
	v_add_f64 v[120:121], v[138:139], -v[146:147]
	v_add_f64 v[122:123], v[144:145], v[140:141]
	v_add_f64 v[116:117], v[18:19], -v[16:17]
	v_add_f64 v[118:119], v[20:21], v[22:23]
	v_and_b32_e32 v37, 0xffff, v39
	s_delay_alu instid0(VALU_DEP_1) | instskip(NEXT) | instid1(VALU_DEP_1)
	v_mul_u32_u24_e32 v37, 0x222, v37
	v_add_lshl_u32 v38, v37, v40, 4
	scratch_store_b128 off, v[116:119], off offset:8 ; 16-byte Folded Spill
	s_waitcnt_vscnt null, 0x0
	s_barrier
	buffer_gl0_inv
	ds_store_b128 v38, v[29:32]
	ds_store_b128 v38, v[33:36] offset:1248
	ds_store_b128 v38, v[96:99] offset:2496
	;; [unrolled: 1-line block ×6, first 2 shown]
	s_and_saveexec_b32 s2, s1
	s_cbranch_execz .LBB0_15
; %bb.14:
	v_add_f64 v[18:19], v[16:17], v[18:19]
	scratch_load_b32 v16, off, off offset:68 ; 4-byte Folded Reload
	v_add_f64 v[20:21], v[22:23], -v[20:21]
	s_waitcnt vmcnt(0)
	v_lshlrev_b32_e32 v16, 4, v16
	ds_store_b128 v16, v[132:135] offset:19968
	ds_store_b128 v16, v[128:131] offset:21216
	;; [unrolled: 1-line block ×6, first 2 shown]
	scratch_load_b128 v[17:20], off, off offset:8 ; 16-byte Folded Reload
	s_waitcnt vmcnt(0)
	ds_store_b128 v16, v[17:20] offset:24960
.LBB0_15:
	s_or_b32 exec_lo, exec_lo, s2
	v_lshlrev_b32_e32 v16, 5, v192
	v_lshlrev_b64 v[20:21], 5, v[148:149]
	s_waitcnt lgkmcnt(0)
	s_barrier
	buffer_gl0_inv
	v_add_co_u32 v18, s2, s8, v16
	s_delay_alu instid0(VALU_DEP_1) | instskip(NEXT) | instid1(VALU_DEP_2)
	v_add_co_ci_u32_e64 v19, null, s9, 0, s2
	v_add_co_u32 v16, s2, 0x2000, v18
	s_delay_alu instid0(VALU_DEP_1) | instskip(SKIP_1) | instid1(VALU_DEP_1)
	v_add_co_ci_u32_e64 v17, s2, 0, v19, s2
	v_add_co_u32 v18, s2, 0x2150, v18
	v_add_co_ci_u32_e64 v19, s2, 0, v19, s2
	v_add_co_u32 v20, s2, s8, v20
	s_clause 0x1
	global_load_b128 v[92:95], v[16:17], off offset:336
	global_load_b128 v[96:99], v[18:19], off offset:16
	v_add_co_ci_u32_e64 v21, s2, s9, v21, s2
	v_lshlrev_b64 v[16:17], 5, v[150:151]
	v_add_co_u32 v18, s2, 0x2150, v20
	s_delay_alu instid0(VALU_DEP_1) | instskip(NEXT) | instid1(VALU_DEP_3)
	v_add_co_ci_u32_e64 v19, s2, 0, v21, s2
	v_add_co_u32 v22, s2, s8, v16
	s_delay_alu instid0(VALU_DEP_1) | instskip(SKIP_1) | instid1(VALU_DEP_1)
	v_add_co_ci_u32_e64 v23, s2, s9, v17, s2
	v_add_co_u32 v16, s2, 0x2000, v20
	v_add_co_ci_u32_e64 v17, s2, 0, v21, s2
	s_delay_alu instid0(VALU_DEP_4) | instskip(NEXT) | instid1(VALU_DEP_1)
	v_add_co_u32 v20, s2, 0x2150, v22
	v_add_co_ci_u32_e64 v21, s2, 0, v23, s2
	v_add_co_u32 v22, s2, 0x2000, v22
	s_delay_alu instid0(VALU_DEP_1)
	v_add_co_ci_u32_e64 v23, s2, 0, v23, s2
	s_clause 0x3
	global_load_b128 v[100:103], v[16:17], off offset:336
	global_load_b128 v[104:107], v[18:19], off offset:16
	;; [unrolled: 1-line block ×4, first 2 shown]
	ds_load_b128 v[16:19], v255 offset:8736
	ds_load_b128 v[20:23], v255 offset:17472
	;; [unrolled: 1-line block ×7, first 2 shown]
	s_mov_b32 s2, 0xe8584caa
	s_mov_b32 s3, 0x3febb67a
	s_mov_b32 s9, 0xbfebb67a
	s_mov_b32 s8, s2
	s_waitcnt vmcnt(5) lgkmcnt(6)
	v_mul_f64 v[36:37], v[18:19], v[94:95]
	s_waitcnt vmcnt(4) lgkmcnt(5)
	v_mul_f64 v[144:145], v[22:23], v[98:99]
	v_mul_f64 v[146:147], v[16:17], v[94:95]
	v_mul_f64 v[148:149], v[20:21], v[98:99]
	s_waitcnt vmcnt(3) lgkmcnt(4)
	v_mul_f64 v[150:151], v[30:31], v[102:103]
	s_waitcnt vmcnt(2) lgkmcnt(3)
	v_mul_f64 v[152:153], v[34:35], v[106:107]
	v_mul_f64 v[154:155], v[28:29], v[102:103]
	v_mul_f64 v[156:157], v[32:33], v[106:107]
	;; [unrolled: 6-line block ×3, first 2 shown]
	v_fma_f64 v[36:37], v[16:17], v[92:93], -v[36:37]
	v_fma_f64 v[144:145], v[20:21], v[96:97], -v[144:145]
	v_fma_f64 v[146:147], v[18:19], v[92:93], v[146:147]
	v_fma_f64 v[148:149], v[22:23], v[96:97], v[148:149]
	ds_load_b128 v[16:19], v255
	ds_load_b128 v[20:23], v255 offset:2912
	v_fma_f64 v[28:29], v[28:29], v[100:101], -v[150:151]
	v_fma_f64 v[32:33], v[32:33], v[104:105], -v[152:153]
	v_fma_f64 v[30:31], v[30:31], v[100:101], v[154:155]
	v_fma_f64 v[34:35], v[34:35], v[104:105], v[156:157]
	v_fma_f64 v[116:117], v[116:117], v[108:109], -v[158:159]
	v_fma_f64 v[150:151], v[136:137], v[112:113], -v[160:161]
	v_fma_f64 v[118:119], v[118:119], v[108:109], v[162:163]
	v_fma_f64 v[152:153], v[138:139], v[112:113], v[164:165]
	s_waitcnt lgkmcnt(1)
	v_add_f64 v[162:163], v[16:17], v[36:37]
	v_add_f64 v[136:137], v[36:37], v[144:145]
	v_add_f64 v[36:37], v[36:37], -v[144:145]
	v_add_f64 v[138:139], v[146:147], v[148:149]
	v_add_f64 v[164:165], v[146:147], -v[148:149]
	v_add_f64 v[146:147], v[18:19], v[146:147]
	s_waitcnt lgkmcnt(0)
	v_add_f64 v[166:167], v[20:21], v[28:29]
	v_add_f64 v[154:155], v[28:29], v[32:33]
	;; [unrolled: 1-line block ×8, first 2 shown]
	v_add_f64 v[30:31], v[30:31], -v[34:35]
	v_add_f64 v[28:29], v[28:29], -v[32:33]
	;; [unrolled: 1-line block ×4, first 2 shown]
	v_fma_f64 v[16:17], v[136:137], -0.5, v[16:17]
	v_add_f64 v[136:137], v[162:163], v[144:145]
	v_fma_f64 v[18:19], v[138:139], -0.5, v[18:19]
	v_add_f64 v[138:139], v[146:147], v[148:149]
	v_add_f64 v[168:169], v[166:167], v[32:33]
	v_fma_f64 v[20:21], v[154:155], -0.5, v[20:21]
	v_add_f64 v[170:171], v[170:171], v[34:35]
	v_fma_f64 v[22:23], v[156:157], -0.5, v[22:23]
	;; [unrolled: 2-line block ×4, first 2 shown]
	v_fma_f64 v[156:157], v[164:165], s[2:3], v[16:17]
	v_fma_f64 v[164:165], v[164:165], s[8:9], v[16:17]
	;; [unrolled: 1-line block ×12, first 2 shown]
	ds_store_b128 v255, v[136:139]
	ds_store_b128 v255, v[168:171] offset:2912
	ds_store_b128 v255, v[156:159] offset:8736
	;; [unrolled: 1-line block ×8, first 2 shown]
	s_waitcnt lgkmcnt(0)
	s_barrier
	buffer_gl0_inv
	s_and_saveexec_b32 s3, vcc_lo
	s_cbranch_execz .LBB0_17
; %bb.16:
	v_add_co_u32 v16, s2, s14, v255
	s_delay_alu instid0(VALU_DEP_1) | instskip(NEXT) | instid1(VALU_DEP_2)
	v_add_co_ci_u32_e64 v17, null, s15, 0, s2
	v_add_co_u32 v18, s2, 0x6000, v16
	s_delay_alu instid0(VALU_DEP_1) | instskip(SKIP_1) | instid1(VALU_DEP_1)
	v_add_co_ci_u32_e64 v19, s2, 0, v17, s2
	v_add_co_u32 v22, s2, 0x6660, v16
	v_add_co_ci_u32_e64 v23, s2, 0, v17, s2
	s_clause 0x2
	global_load_b128 v[18:21], v[18:19], off offset:1632
	global_load_b128 v[28:31], v[22:23], off offset:2016
	;; [unrolled: 1-line block ×3, first 2 shown]
	v_add_co_u32 v22, s2, 0x7000, v16
	s_delay_alu instid0(VALU_DEP_1) | instskip(SKIP_2) | instid1(VALU_DEP_1)
	v_add_co_ci_u32_e64 v23, s2, 0, v17, s2
	global_load_b128 v[116:119], v[22:23], off offset:3584
	v_add_co_u32 v22, s2, 0x8000, v16
	v_add_co_ci_u32_e64 v23, s2, 0, v17, s2
	s_clause 0x1
	global_load_b128 v[140:143], v[22:23], off offset:1504
	global_load_b128 v[144:147], v[22:23], off offset:3520
	ds_load_b128 v[152:155], v255
	ds_load_b128 v[184:187], v255 offset:2016
	s_waitcnt vmcnt(5) lgkmcnt(1)
	v_mul_f64 v[22:23], v[154:155], v[20:21]
	v_mul_f64 v[36:37], v[152:153], v[20:21]
	s_waitcnt vmcnt(4) lgkmcnt(0)
	v_mul_f64 v[188:189], v[186:187], v[30:31]
	s_delay_alu instid0(VALU_DEP_3) | instskip(NEXT) | instid1(VALU_DEP_3)
	v_fma_f64 v[20:21], v[152:153], v[18:19], -v[22:23]
	v_fma_f64 v[22:23], v[154:155], v[18:19], v[36:37]
	v_mul_f64 v[18:19], v[184:185], v[30:31]
	ds_load_b128 v[152:155], v255 offset:4032
	v_fma_f64 v[184:185], v[184:185], v[28:29], -v[188:189]
	v_fma_f64 v[186:187], v[186:187], v[28:29], v[18:19]
	ds_load_b128 v[28:31], v255 offset:6048
	s_waitcnt vmcnt(3) lgkmcnt(1)
	v_mul_f64 v[18:19], v[154:155], v[34:35]
	v_mul_f64 v[36:37], v[152:153], v[34:35]
	s_waitcnt vmcnt(2) lgkmcnt(0)
	v_mul_f64 v[188:189], v[30:31], v[118:119]
	s_delay_alu instid0(VALU_DEP_3) | instskip(SKIP_1) | instid1(VALU_DEP_4)
	v_fma_f64 v[34:35], v[152:153], v[32:33], -v[18:19]
	v_mul_f64 v[18:19], v[28:29], v[118:119]
	v_fma_f64 v[36:37], v[154:155], v[32:33], v[36:37]
	ds_load_b128 v[152:155], v255 offset:8064
	v_fma_f64 v[28:29], v[28:29], v[116:117], -v[188:189]
	v_add_co_u32 v188, s2, 0x9000, v16
	s_delay_alu instid0(VALU_DEP_1)
	v_add_co_ci_u32_e64 v189, s2, 0, v17, s2
	v_fma_f64 v[30:31], v[30:31], v[116:117], v[18:19]
	ds_load_b128 v[116:119], v255 offset:10080
	s_waitcnt vmcnt(1) lgkmcnt(1)
	v_mul_f64 v[18:19], v[154:155], v[142:143]
	v_mul_f64 v[32:33], v[152:153], v[142:143]
	s_delay_alu instid0(VALU_DEP_2) | instskip(NEXT) | instid1(VALU_DEP_2)
	v_fma_f64 v[152:153], v[152:153], v[140:141], -v[18:19]
	v_fma_f64 v[154:155], v[154:155], v[140:141], v[32:33]
	s_waitcnt vmcnt(0) lgkmcnt(0)
	v_mul_f64 v[18:19], v[118:119], v[146:147]
	global_load_b128 v[140:143], v[188:189], off offset:1440
	v_mul_f64 v[32:33], v[116:117], v[146:147]
	v_fma_f64 v[116:117], v[116:117], v[144:145], -v[18:19]
	s_delay_alu instid0(VALU_DEP_2)
	v_fma_f64 v[118:119], v[118:119], v[144:145], v[32:33]
	global_load_b128 v[144:147], v[188:189], off offset:3456
	ds_load_b128 v[188:191], v255 offset:12096
	ds_load_b128 v[193:196], v255 offset:14112
	s_waitcnt vmcnt(1) lgkmcnt(1)
	v_mul_f64 v[18:19], v[190:191], v[142:143]
	v_mul_f64 v[32:33], v[188:189], v[142:143]
	s_delay_alu instid0(VALU_DEP_2) | instskip(NEXT) | instid1(VALU_DEP_2)
	v_fma_f64 v[188:189], v[188:189], v[140:141], -v[18:19]
	v_fma_f64 v[190:191], v[190:191], v[140:141], v[32:33]
	s_waitcnt vmcnt(0) lgkmcnt(0)
	v_mul_f64 v[18:19], v[195:196], v[146:147]
	v_mul_f64 v[32:33], v[193:194], v[146:147]
	s_delay_alu instid0(VALU_DEP_2) | instskip(SKIP_1) | instid1(VALU_DEP_1)
	v_fma_f64 v[140:141], v[193:194], v[144:145], -v[18:19]
	v_add_co_u32 v18, s2, 0xa000, v16
	v_add_co_ci_u32_e64 v19, s2, 0, v17, s2
	s_delay_alu instid0(VALU_DEP_4)
	v_fma_f64 v[142:143], v[195:196], v[144:145], v[32:33]
	s_clause 0x1
	global_load_b128 v[144:147], v[18:19], off offset:1376
	global_load_b128 v[193:196], v[18:19], off offset:3392
	ds_load_b128 v[197:200], v255 offset:16128
	ds_load_b128 v[201:204], v255 offset:18144
	s_waitcnt vmcnt(1) lgkmcnt(1)
	v_mul_f64 v[18:19], v[199:200], v[146:147]
	v_mul_f64 v[32:33], v[197:198], v[146:147]
	s_delay_alu instid0(VALU_DEP_2) | instskip(SKIP_2) | instid1(VALU_DEP_3)
	v_fma_f64 v[197:198], v[197:198], v[144:145], -v[18:19]
	s_waitcnt vmcnt(0) lgkmcnt(0)
	v_mul_f64 v[18:19], v[203:204], v[195:196]
	v_fma_f64 v[199:200], v[199:200], v[144:145], v[32:33]
	v_mul_f64 v[32:33], v[201:202], v[195:196]
	s_delay_alu instid0(VALU_DEP_3) | instskip(SKIP_1) | instid1(VALU_DEP_1)
	v_fma_f64 v[144:145], v[201:202], v[193:194], -v[18:19]
	v_add_co_u32 v18, s2, 0xb000, v16
	v_add_co_ci_u32_e64 v19, s2, 0, v17, s2
	s_delay_alu instid0(VALU_DEP_4)
	v_fma_f64 v[146:147], v[203:204], v[193:194], v[32:33]
	s_clause 0x1
	global_load_b128 v[193:196], v[18:19], off offset:1312
	global_load_b128 v[201:204], v[18:19], off offset:3328
	ds_load_b128 v[205:208], v255 offset:20160
	ds_load_b128 v[209:212], v255 offset:22176
	v_add_co_u32 v16, s2, 0xc000, v16
	s_delay_alu instid0(VALU_DEP_1) | instskip(SKIP_3) | instid1(VALU_DEP_2)
	v_add_co_ci_u32_e64 v17, s2, 0, v17, s2
	s_waitcnt vmcnt(1) lgkmcnt(1)
	v_mul_f64 v[18:19], v[207:208], v[195:196]
	v_mul_f64 v[32:33], v[205:206], v[195:196]
	v_fma_f64 v[205:206], v[205:206], v[193:194], -v[18:19]
	s_waitcnt vmcnt(0) lgkmcnt(0)
	v_mul_f64 v[18:19], v[211:212], v[203:204]
	s_delay_alu instid0(VALU_DEP_3) | instskip(SKIP_1) | instid1(VALU_DEP_3)
	v_fma_f64 v[207:208], v[207:208], v[193:194], v[32:33]
	v_mul_f64 v[32:33], v[209:210], v[203:204]
	v_fma_f64 v[193:194], v[209:210], v[201:202], -v[18:19]
	global_load_b128 v[16:19], v[16:17], off offset:1248
	v_fma_f64 v[195:196], v[211:212], v[201:202], v[32:33]
	ds_load_b128 v[201:204], v255 offset:24192
	s_waitcnt vmcnt(0) lgkmcnt(0)
	v_mul_f64 v[32:33], v[203:204], v[18:19]
	v_mul_f64 v[18:19], v[201:202], v[18:19]
	s_delay_alu instid0(VALU_DEP_2) | instskip(NEXT) | instid1(VALU_DEP_2)
	v_fma_f64 v[201:202], v[201:202], v[16:17], -v[32:33]
	v_fma_f64 v[203:204], v[203:204], v[16:17], v[18:19]
	ds_store_b128 v255, v[20:23]
	ds_store_b128 v255, v[184:187] offset:2016
	ds_store_b128 v255, v[34:37] offset:4032
	;; [unrolled: 1-line block ×12, first 2 shown]
.LBB0_17:
	s_or_b32 exec_lo, exec_lo, s3
	s_waitcnt lgkmcnt(0)
	s_barrier
	buffer_gl0_inv
	s_and_saveexec_b32 s2, vcc_lo
	s_cbranch_execz .LBB0_19
; %bb.18:
	ds_load_b128 v[136:139], v255
	ds_load_b128 v[156:159], v255 offset:2016
	ds_load_b128 v[164:167], v255 offset:4032
	;; [unrolled: 1-line block ×12, first 2 shown]
.LBB0_19:
	s_or_b32 exec_lo, exec_lo, s2
	s_waitcnt lgkmcnt(0)
	v_add_f64 v[205:206], v[158:159], -v[122:123]
	s_mov_b32 s20, 0x4267c47c
	s_mov_b32 s21, 0xbfddbe06
	v_add_f64 v[201:202], v[156:157], v[120:121]
	v_add_f64 v[217:218], v[166:167], -v[126:127]
	v_add_f64 v[215:216], v[166:167], v[126:127]
	s_mov_b32 s8, 0xe00740e9
	s_mov_b32 s2, 0x1ea71119
	;; [unrolled: 1-line block ×6, first 2 shown]
	v_add_f64 v[193:194], v[164:165], v[124:125]
	v_add_f64 v[231:232], v[158:159], v[122:123]
	v_add_f64 v[219:220], v[156:157], -v[120:121]
	v_add_f64 v[197:198], v[164:165], -v[124:125]
	;; [unrolled: 1-line block ×3, first 2 shown]
	s_mov_b32 s18, 0x66966769
	s_mov_b32 s19, 0xbfefc445
	v_add_f64 v[207:208], v[168:169], v[128:129]
	s_mov_b32 s16, 0xebaa3ed8
	s_mov_b32 s17, 0x3fbedb7d
	v_add_f64 v[233:234], v[170:171], v[130:131]
	v_add_f64 v[211:212], v[168:169], -v[128:129]
	v_add_f64 v[247:248], v[182:183], -v[134:135]
	s_mov_b32 s24, 0x2ef20147
	s_mov_b32 s25, 0xbfedeba7
	v_add_f64 v[223:224], v[180:181], v[132:133]
	s_mov_b32 s22, 0xb2365da1
	s_mov_b32 s23, 0xbfd6b1d8
	v_add_f64 v[245:246], v[182:183], v[134:135]
	v_add_f64 v[227:228], v[180:181], -v[132:133]
	v_add_f64 v[203:204], v[178:179], -v[150:151]
	s_mov_b32 s28, 0x24c2f84
	s_mov_b32 s29, 0xbfe5384d
	v_add_f64 v[237:238], v[176:177], v[148:149]
	s_mov_b32 s26, 0xd0032e0c
	s_mov_b32 s27, 0xbfe7f3cc
	v_mul_f64 v[16:17], v[205:206], s[20:21]
	v_add_f64 v[199:200], v[178:179], v[150:151]
	v_add_f64 v[241:242], v[176:177], -v[148:149]
	v_add_f64 v[209:210], v[174:175], -v[162:163]
	v_mul_f64 v[41:42], v[217:218], s[10:11]
	v_mul_f64 v[20:21], v[215:216], s[2:3]
	v_add_f64 v[249:250], v[172:173], v[160:161]
	s_mov_b32 s30, 0x93053d00
	s_mov_b32 s31, 0xbfef11f4
	v_add_f64 v[251:252], v[174:175], v[162:163]
	v_add_f64 v[253:254], v[172:173], -v[160:161]
	s_mov_b32 s40, s28
	s_mov_b32 s39, 0x3fefc445
	;; [unrolled: 1-line block ×5, first 2 shown]
	v_mul_f64 v[239:240], v[205:206], s[18:19]
	v_mul_f64 v[28:29], v[231:232], s[16:17]
	s_mov_b32 s45, 0x3fedeba7
	s_mov_b32 s44, s24
	v_mul_f64 v[30:31], v[205:206], s[24:25]
	v_mul_f64 v[32:33], v[231:232], s[22:23]
	s_mov_b32 s43, 0x3fcea1e5
	s_mov_b32 s42, s34
	;; [unrolled: 1-line block ×4, first 2 shown]
	v_mul_f64 v[34:35], v[205:206], s[28:29]
	v_mul_f64 v[243:244], v[217:218], s[38:39]
	;; [unrolled: 1-line block ×8, first 2 shown]
	scratch_store_b64 off, v[16:17], off offset:176 ; 8-byte Folded Spill
	v_fma_f64 v[16:17], v[201:202], s[8:9], -v[16:17]
	v_mul_f64 v[195:196], v[209:210], s[46:47]
	v_fma_f64 v[18:19], v[193:194], s[2:3], -v[41:42]
	scratch_store_b64 off, v[20:21], off offset:168 ; 8-byte Folded Spill
	v_fma_f64 v[20:21], v[197:198], s[10:11], v[20:21]
	v_mul_f64 v[221:222], v[251:252], s[2:3]
	v_add_f64 v[16:17], v[136:137], v[16:17]
	s_delay_alu instid0(VALU_DEP_1) | instskip(SKIP_3) | instid1(VALU_DEP_1)
	v_add_f64 v[16:17], v[18:19], v[16:17]
	v_mul_f64 v[18:19], v[231:232], s[8:9]
	scratch_store_b64 off, v[18:19], off offset:200 ; 8-byte Folded Spill
	v_fma_f64 v[18:19], v[219:220], s[20:21], v[18:19]
	v_add_f64 v[18:19], v[138:139], v[18:19]
	s_delay_alu instid0(VALU_DEP_1) | instskip(SKIP_3) | instid1(VALU_DEP_1)
	v_add_f64 v[18:19], v[20:21], v[18:19]
	v_mul_f64 v[20:21], v[235:236], s[18:19]
	scratch_store_b64 off, v[20:21], off offset:184 ; 8-byte Folded Spill
	v_fma_f64 v[20:21], v[207:208], s[16:17], -v[20:21]
	v_add_f64 v[16:17], v[20:21], v[16:17]
	v_mul_f64 v[20:21], v[233:234], s[16:17]
	scratch_store_b64 off, v[20:21], off offset:192 ; 8-byte Folded Spill
	v_fma_f64 v[20:21], v[211:212], s[18:19], v[20:21]
	s_delay_alu instid0(VALU_DEP_1) | instskip(SKIP_3) | instid1(VALU_DEP_1)
	v_add_f64 v[18:19], v[20:21], v[18:19]
	v_mul_f64 v[20:21], v[247:248], s[24:25]
	scratch_store_b64 off, v[20:21], off offset:208 ; 8-byte Folded Spill
	v_fma_f64 v[20:21], v[223:224], s[22:23], -v[20:21]
	v_add_f64 v[16:17], v[20:21], v[16:17]
	v_mul_f64 v[20:21], v[245:246], s[22:23]
	scratch_store_b64 off, v[20:21], off offset:216 ; 8-byte Folded Spill
	v_fma_f64 v[20:21], v[227:228], s[24:25], v[20:21]
	;; [unrolled: 9-line block ×3, first 2 shown]
	s_delay_alu instid0(VALU_DEP_1) | instskip(SKIP_3) | instid1(VALU_DEP_1)
	v_add_f64 v[18:19], v[20:21], v[18:19]
	v_mul_f64 v[20:21], v[209:210], s[34:35]
	scratch_store_b64 off, v[20:21], off offset:240 ; 8-byte Folded Spill
	v_fma_f64 v[20:21], v[249:250], s[30:31], -v[20:21]
	v_add_f64 v[140:141], v[20:21], v[16:17]
	v_mul_f64 v[16:17], v[251:252], s[30:31]
	v_mul_f64 v[20:21], v[215:216], s[22:23]
	s_clause 0x1
	scratch_store_b64 off, v[16:17], off offset:248
	scratch_store_b64 off, v[20:21], off offset:272
	v_fma_f64 v[16:17], v[253:254], s[34:35], v[16:17]
	v_fma_f64 v[20:21], v[197:198], s[24:25], v[20:21]
	s_delay_alu instid0(VALU_DEP_2)
	v_add_f64 v[142:143], v[16:17], v[18:19]
	v_mul_f64 v[16:17], v[205:206], s[10:11]
	v_mul_f64 v[18:19], v[217:218], s[24:25]
	s_clause 0x1
	scratch_store_b64 off, v[16:17], off offset:472
	scratch_store_b64 off, v[18:19], off offset:256
	v_fma_f64 v[16:17], v[201:202], s[2:3], -v[16:17]
	v_fma_f64 v[18:19], v[193:194], s[22:23], -v[18:19]
	s_delay_alu instid0(VALU_DEP_2) | instskip(NEXT) | instid1(VALU_DEP_1)
	v_add_f64 v[16:17], v[136:137], v[16:17]
	v_add_f64 v[16:17], v[18:19], v[16:17]
	v_mul_f64 v[18:19], v[231:232], s[2:3]
	scratch_store_b64 off, v[18:19], off offset:488 ; 8-byte Folded Spill
	v_fma_f64 v[18:19], v[219:220], s[10:11], v[18:19]
	s_delay_alu instid0(VALU_DEP_1) | instskip(NEXT) | instid1(VALU_DEP_1)
	v_add_f64 v[18:19], v[138:139], v[18:19]
	v_add_f64 v[18:19], v[20:21], v[18:19]
	v_mul_f64 v[20:21], v[235:236], s[34:35]
	scratch_store_b64 off, v[20:21], off offset:264 ; 8-byte Folded Spill
	v_fma_f64 v[20:21], v[207:208], s[30:31], -v[20:21]
	s_delay_alu instid0(VALU_DEP_1) | instskip(SKIP_3) | instid1(VALU_DEP_1)
	v_add_f64 v[16:17], v[20:21], v[16:17]
	v_mul_f64 v[20:21], v[233:234], s[30:31]
	scratch_store_b64 off, v[20:21], off offset:288 ; 8-byte Folded Spill
	v_fma_f64 v[20:21], v[211:212], s[34:35], v[20:21]
	v_add_f64 v[18:19], v[20:21], v[18:19]
	v_mul_f64 v[20:21], v[247:248], s[40:41]
	scratch_store_b64 off, v[20:21], off offset:280 ; 8-byte Folded Spill
	v_fma_f64 v[20:21], v[223:224], s[26:27], -v[20:21]
	s_delay_alu instid0(VALU_DEP_1) | instskip(SKIP_3) | instid1(VALU_DEP_1)
	v_add_f64 v[16:17], v[20:21], v[16:17]
	v_mul_f64 v[20:21], v[245:246], s[26:27]
	scratch_store_b64 off, v[20:21], off offset:304 ; 8-byte Folded Spill
	v_fma_f64 v[20:21], v[227:228], s[40:41], v[20:21]
	;; [unrolled: 9-line block ×3, first 2 shown]
	v_add_f64 v[18:19], v[20:21], v[18:19]
	v_mul_f64 v[20:21], v[209:210], s[36:37]
	scratch_store_b64 off, v[20:21], off offset:312 ; 8-byte Folded Spill
	v_fma_f64 v[20:21], v[249:250], s[8:9], -v[20:21]
	s_delay_alu instid0(VALU_DEP_1)
	v_add_f64 v[144:145], v[20:21], v[16:17]
	v_mul_f64 v[16:17], v[251:252], s[8:9]
	v_mul_f64 v[20:21], v[215:216], s[30:31]
	scratch_store_b64 off, v[16:17], off offset:336 ; 8-byte Folded Spill
	v_fma_f64 v[16:17], v[253:254], s[36:37], v[16:17]
	scratch_store_b64 off, v[20:21], off offset:360 ; 8-byte Folded Spill
	v_fma_f64 v[20:21], v[197:198], s[34:35], v[20:21]
	v_add_f64 v[146:147], v[16:17], v[18:19]
	v_fma_f64 v[16:17], v[201:202], s[16:17], -v[239:240]
	v_mul_f64 v[18:19], v[217:218], s[34:35]
	s_delay_alu instid0(VALU_DEP_2) | instskip(SKIP_2) | instid1(VALU_DEP_1)
	v_add_f64 v[16:17], v[136:137], v[16:17]
	scratch_store_b64 off, v[18:19], off offset:328 ; 8-byte Folded Spill
	v_fma_f64 v[18:19], v[193:194], s[30:31], -v[18:19]
	v_add_f64 v[16:17], v[18:19], v[16:17]
	v_fma_f64 v[18:19], v[219:220], s[18:19], v[28:29]
	s_delay_alu instid0(VALU_DEP_1) | instskip(NEXT) | instid1(VALU_DEP_1)
	v_add_f64 v[18:19], v[138:139], v[18:19]
	v_add_f64 v[18:19], v[20:21], v[18:19]
	v_mul_f64 v[20:21], v[235:236], s[44:45]
	scratch_store_b64 off, v[20:21], off offset:344 ; 8-byte Folded Spill
	v_fma_f64 v[20:21], v[207:208], s[22:23], -v[20:21]
	s_delay_alu instid0(VALU_DEP_1) | instskip(SKIP_3) | instid1(VALU_DEP_1)
	v_add_f64 v[16:17], v[20:21], v[16:17]
	v_mul_f64 v[20:21], v[233:234], s[22:23]
	scratch_store_b64 off, v[20:21], off offset:392 ; 8-byte Folded Spill
	v_fma_f64 v[20:21], v[211:212], s[44:45], v[20:21]
	v_add_f64 v[18:19], v[20:21], v[18:19]
	v_mul_f64 v[20:21], v[247:248], s[36:37]
	scratch_store_b64 off, v[20:21], off offset:376 ; 8-byte Folded Spill
	v_fma_f64 v[20:21], v[223:224], s[8:9], -v[20:21]
	s_delay_alu instid0(VALU_DEP_1) | instskip(SKIP_3) | instid1(VALU_DEP_1)
	v_add_f64 v[16:17], v[20:21], v[16:17]
	v_mul_f64 v[20:21], v[245:246], s[8:9]
	scratch_store_b64 off, v[20:21], off offset:408 ; 8-byte Folded Spill
	v_fma_f64 v[20:21], v[227:228], s[36:37], v[20:21]
	;; [unrolled: 9-line block ×3, first 2 shown]
	v_add_f64 v[18:19], v[20:21], v[18:19]
	v_mul_f64 v[20:21], v[209:210], s[28:29]
	scratch_store_b64 off, v[20:21], off offset:352 ; 8-byte Folded Spill
	v_fma_f64 v[20:21], v[249:250], s[26:27], -v[20:21]
	s_delay_alu instid0(VALU_DEP_1)
	v_add_f64 v[152:153], v[20:21], v[16:17]
	v_mul_f64 v[16:17], v[251:252], s[26:27]
	v_mul_f64 v[20:21], v[215:216], s[26:27]
	scratch_store_b64 off, v[16:17], off offset:416 ; 8-byte Folded Spill
	v_fma_f64 v[16:17], v[253:254], s[28:29], v[16:17]
	scratch_store_b64 off, v[20:21], off offset:440 ; 8-byte Folded Spill
	v_fma_f64 v[20:21], v[197:198], s[40:41], v[20:21]
	v_add_f64 v[154:155], v[16:17], v[18:19]
	v_fma_f64 v[16:17], v[201:202], s[22:23], -v[30:31]
	v_mul_f64 v[18:19], v[217:218], s[40:41]
	s_delay_alu instid0(VALU_DEP_2) | instskip(SKIP_2) | instid1(VALU_DEP_1)
	v_add_f64 v[16:17], v[136:137], v[16:17]
	scratch_store_b64 off, v[18:19], off offset:368 ; 8-byte Folded Spill
	v_fma_f64 v[18:19], v[193:194], s[26:27], -v[18:19]
	v_add_f64 v[16:17], v[18:19], v[16:17]
	v_fma_f64 v[18:19], v[219:220], s[24:25], v[32:33]
	s_delay_alu instid0(VALU_DEP_1) | instskip(NEXT) | instid1(VALU_DEP_1)
	v_add_f64 v[18:19], v[138:139], v[18:19]
	v_add_f64 v[18:19], v[20:21], v[18:19]
	v_mul_f64 v[20:21], v[235:236], s[36:37]
	scratch_store_b64 off, v[20:21], off offset:400 ; 8-byte Folded Spill
	v_fma_f64 v[20:21], v[207:208], s[8:9], -v[20:21]
	s_delay_alu instid0(VALU_DEP_1) | instskip(SKIP_3) | instid1(VALU_DEP_1)
	v_add_f64 v[16:17], v[20:21], v[16:17]
	v_mul_f64 v[20:21], v[233:234], s[8:9]
	scratch_store_b64 off, v[20:21], off offset:456 ; 8-byte Folded Spill
	v_fma_f64 v[20:21], v[211:212], s[36:37], v[20:21]
	v_add_f64 v[18:19], v[20:21], v[18:19]
	v_mul_f64 v[20:21], v[247:248], s[18:19]
	scratch_store_b64 off, v[20:21], off offset:424 ; 8-byte Folded Spill
	v_fma_f64 v[20:21], v[223:224], s[16:17], -v[20:21]
	s_delay_alu instid0(VALU_DEP_1) | instskip(SKIP_3) | instid1(VALU_DEP_1)
	v_add_f64 v[16:17], v[20:21], v[16:17]
	v_mul_f64 v[20:21], v[245:246], s[16:17]
	scratch_store_b64 off, v[20:21], off offset:464 ; 8-byte Folded Spill
	v_fma_f64 v[20:21], v[227:228], s[18:19], v[20:21]
	v_add_f64 v[18:19], v[20:21], v[18:19]
	v_mul_f64 v[20:21], v[203:204], s[42:43]
	scratch_store_b64 off, v[20:21], off offset:448 ; 8-byte Folded Spill
	v_fma_f64 v[20:21], v[237:238], s[30:31], -v[20:21]
	s_delay_alu instid0(VALU_DEP_1)
	v_add_f64 v[16:17], v[20:21], v[16:17]
	v_mul_f64 v[20:21], v[199:200], s[30:31]
	scratch_store_b64 off, v[20:21], off offset:480 ; 8-byte Folded Spill
	v_fma_f64 v[20:21], v[241:242], s[42:43], v[20:21]
	s_waitcnt_vscnt null, 0x0
	s_barrier
	buffer_gl0_inv
	v_add_f64 v[18:19], v[20:21], v[18:19]
	v_fma_f64 v[20:21], v[249:250], s[2:3], -v[195:196]
	s_delay_alu instid0(VALU_DEP_1) | instskip(SKIP_2) | instid1(VALU_DEP_2)
	v_add_f64 v[188:189], v[20:21], v[16:17]
	v_fma_f64 v[16:17], v[253:254], s[46:47], v[221:222]
	v_fma_f64 v[20:21], v[197:198], s[38:39], v[118:119]
	v_add_f64 v[190:191], v[16:17], v[18:19]
	v_fma_f64 v[16:17], v[201:202], s[26:27], -v[34:35]
	v_fma_f64 v[18:19], v[193:194], s[16:17], -v[243:244]
	s_delay_alu instid0(VALU_DEP_2) | instskip(NEXT) | instid1(VALU_DEP_1)
	v_add_f64 v[16:17], v[136:137], v[16:17]
	v_add_f64 v[16:17], v[18:19], v[16:17]
	v_fma_f64 v[18:19], v[219:220], s[28:29], v[36:37]
	s_delay_alu instid0(VALU_DEP_1) | instskip(NEXT) | instid1(VALU_DEP_1)
	v_add_f64 v[18:19], v[138:139], v[18:19]
	v_add_f64 v[18:19], v[20:21], v[18:19]
	v_fma_f64 v[20:21], v[207:208], s[2:3], -v[213:214]
	s_delay_alu instid0(VALU_DEP_1) | instskip(SKIP_1) | instid1(VALU_DEP_1)
	v_add_f64 v[16:17], v[20:21], v[16:17]
	v_fma_f64 v[20:21], v[211:212], s[10:11], v[229:230]
	v_add_f64 v[20:21], v[20:21], v[18:19]
	v_fma_f64 v[18:19], v[223:224], s[30:31], -v[225:226]
	s_delay_alu instid0(VALU_DEP_1) | instskip(SKIP_1) | instid1(VALU_DEP_1)
	v_add_f64 v[16:17], v[18:19], v[16:17]
	v_mul_f64 v[18:19], v[245:246], s[30:31]
	v_fma_f64 v[22:23], v[227:228], s[42:43], v[18:19]
	s_delay_alu instid0(VALU_DEP_1) | instskip(SKIP_1) | instid1(VALU_DEP_1)
	v_add_f64 v[22:23], v[22:23], v[20:21]
	v_fma_f64 v[20:21], v[237:238], s[8:9], -v[116:117]
	v_add_f64 v[184:185], v[20:21], v[16:17]
	v_mul_f64 v[20:21], v[199:200], s[8:9]
	s_delay_alu instid0(VALU_DEP_1) | instskip(NEXT) | instid1(VALU_DEP_1)
	v_fma_f64 v[16:17], v[241:242], s[36:37], v[20:21]
	v_add_f64 v[186:187], v[16:17], v[22:23]
	v_mul_f64 v[16:17], v[209:210], s[24:25]
	s_delay_alu instid0(VALU_DEP_1) | instskip(NEXT) | instid1(VALU_DEP_1)
	v_fma_f64 v[22:23], v[249:250], s[22:23], -v[16:17]
	v_add_f64 v[184:185], v[22:23], v[184:185]
	v_mul_f64 v[22:23], v[251:252], s[22:23]
	s_delay_alu instid0(VALU_DEP_1) | instskip(NEXT) | instid1(VALU_DEP_1)
	v_fma_f64 v[39:40], v[253:254], s[24:25], v[22:23]
	v_add_f64 v[186:187], v[39:40], v[186:187]
	s_and_saveexec_b32 s33, vcc_lo
	s_cbranch_execz .LBB0_21
; %bb.20:
	scratch_store_b64 off, v[41:42], off offset:496 ; 8-byte Folded Spill
	v_add_f64 v[41:42], v[136:137], v[156:157]
	v_add_f64 v[39:40], v[138:139], v[158:159]
	s_delay_alu instid0(VALU_DEP_2) | instskip(NEXT) | instid1(VALU_DEP_2)
	v_add_f64 v[41:42], v[41:42], v[164:165]
	v_add_f64 v[39:40], v[39:40], v[166:167]
	s_delay_alu instid0(VALU_DEP_2) | instskip(NEXT) | instid1(VALU_DEP_2)
	v_add_f64 v[41:42], v[41:42], v[168:169]
	v_add_f64 v[39:40], v[39:40], v[170:171]
	v_mul_f64 v[170:171], v[253:254], s[38:39]
	v_mul_f64 v[168:169], v[209:210], s[38:39]
	s_delay_alu instid0(VALU_DEP_4) | instskip(NEXT) | instid1(VALU_DEP_4)
	v_add_f64 v[41:42], v[41:42], v[180:181]
	v_add_f64 v[39:40], v[39:40], v[182:183]
	s_delay_alu instid0(VALU_DEP_2) | instskip(NEXT) | instid1(VALU_DEP_2)
	v_add_f64 v[41:42], v[41:42], v[176:177]
	v_add_f64 v[39:40], v[39:40], v[178:179]
	s_delay_alu instid0(VALU_DEP_2) | instskip(NEXT) | instid1(VALU_DEP_2)
	;; [unrolled: 3-line block ×4, first 2 shown]
	v_add_f64 v[41:42], v[41:42], v[148:149]
	v_add_f64 v[39:40], v[39:40], v[150:151]
	v_mul_f64 v[148:149], v[201:202], s[8:9]
	scratch_load_b64 v[150:151], off, off offset:176 ; 8-byte Folded Reload
	v_add_f64 v[41:42], v[41:42], v[132:133]
	v_add_f64 v[39:40], v[39:40], v[134:135]
	scratch_load_b64 v[132:133], off, off offset:200 ; 8-byte Folded Reload
	v_add_f64 v[41:42], v[41:42], v[128:129]
	scratch_load_b64 v[128:129], off, off offset:488 ; 8-byte Folded Reload
	;; [unrolled: 2-line block ×3, first 2 shown]
	v_add_f64 v[41:42], v[41:42], v[124:125]
	v_mul_f64 v[124:125], v[219:220], s[28:29]
	v_add_f64 v[39:40], v[39:40], v[126:127]
	v_mul_f64 v[126:127], v[219:220], s[10:11]
	s_delay_alu instid0(VALU_DEP_4) | instskip(NEXT) | instid1(VALU_DEP_4)
	v_add_f64 v[120:121], v[41:42], v[120:121]
	v_add_f64 v[36:37], v[36:37], -v[124:125]
	v_mul_f64 v[124:125], v[201:202], s[26:27]
	v_add_f64 v[122:123], v[39:40], v[122:123]
	v_mul_f64 v[39:40], v[219:220], s[34:35]
	s_delay_alu instid0(VALU_DEP_4) | instskip(NEXT) | instid1(VALU_DEP_4)
	v_add_f64 v[36:37], v[138:139], v[36:37]
	v_add_f64 v[34:35], v[124:125], v[34:35]
	v_mul_f64 v[124:125], v[219:220], s[24:25]
	s_delay_alu instid0(VALU_DEP_4) | instskip(SKIP_1) | instid1(VALU_DEP_3)
	v_fma_f64 v[41:42], v[231:232], s[30:31], v[39:40]
	v_fma_f64 v[39:40], v[231:232], s[30:31], -v[39:40]
	v_add_f64 v[32:33], v[32:33], -v[124:125]
	v_mul_f64 v[124:125], v[201:202], s[22:23]
	s_delay_alu instid0(VALU_DEP_4) | instskip(NEXT) | instid1(VALU_DEP_4)
	v_add_f64 v[41:42], v[138:139], v[41:42]
	v_add_f64 v[39:40], v[138:139], v[39:40]
	s_delay_alu instid0(VALU_DEP_4) | instskip(NEXT) | instid1(VALU_DEP_4)
	v_add_f64 v[156:157], v[138:139], v[32:33]
	v_add_f64 v[30:31], v[124:125], v[30:31]
	v_mul_f64 v[124:125], v[219:220], s[18:19]
	v_mul_f64 v[32:33], v[197:198], s[36:37]
	s_delay_alu instid0(VALU_DEP_3) | instskip(NEXT) | instid1(VALU_DEP_3)
	v_add_f64 v[158:159], v[136:137], v[30:31]
	v_add_f64 v[28:29], v[28:29], -v[124:125]
	v_mul_f64 v[124:125], v[201:202], s[16:17]
	s_waitcnt vmcnt(3)
	v_add_f64 v[148:149], v[148:149], v[150:151]
	v_add_f64 v[150:151], v[136:137], v[34:35]
	v_mul_f64 v[34:35], v[217:218], s[36:37]
	v_add_f64 v[160:161], v[138:139], v[28:29]
	v_fma_f64 v[28:29], v[215:216], s[8:9], v[32:33]
	v_add_f64 v[124:125], v[124:125], v[239:240]
	v_fma_f64 v[32:33], v[215:216], s[8:9], -v[32:33]
	v_fma_f64 v[30:31], v[193:194], s[8:9], -v[34:35]
	v_fma_f64 v[34:35], v[193:194], s[8:9], v[34:35]
	v_add_f64 v[28:29], v[28:29], v[41:42]
	v_mul_f64 v[41:42], v[211:212], s[28:29]
	v_add_f64 v[162:163], v[136:137], v[124:125]
	v_add_f64 v[32:33], v[32:33], v[39:40]
	s_waitcnt vmcnt(1)
	v_add_f64 v[126:127], v[128:129], -v[126:127]
	v_mul_f64 v[128:129], v[201:202], s[2:3]
	s_delay_alu instid0(VALU_DEP_2) | instskip(SKIP_1) | instid1(VALU_DEP_2)
	v_add_f64 v[124:125], v[138:139], v[126:127]
	s_waitcnt vmcnt(0)
	v_add_f64 v[128:129], v[128:129], v[130:131]
	v_mul_f64 v[130:131], v[219:220], s[20:21]
	s_delay_alu instid0(VALU_DEP_2) | instskip(NEXT) | instid1(VALU_DEP_2)
	v_add_f64 v[126:127], v[136:137], v[128:129]
	v_add_f64 v[130:131], v[132:133], -v[130:131]
	v_mul_f64 v[132:133], v[205:206], s[34:35]
	v_fma_f64 v[128:129], v[233:234], s[26:27], v[41:42]
	v_fma_f64 v[41:42], v[233:234], s[26:27], -v[41:42]
	s_delay_alu instid0(VALU_DEP_4) | instskip(NEXT) | instid1(VALU_DEP_4)
	v_add_f64 v[138:139], v[138:139], v[130:131]
	v_fma_f64 v[134:135], v[201:202], s[30:31], -v[132:133]
	s_delay_alu instid0(VALU_DEP_4)
	v_add_f64 v[28:29], v[128:129], v[28:29]
	v_mul_f64 v[128:129], v[235:236], s[28:29]
	v_fma_f64 v[132:133], v[201:202], s[30:31], v[132:133]
	v_add_f64 v[32:33], v[41:42], v[32:33]
	v_fma_f64 v[41:42], v[249:250], s[16:17], v[168:169]
	v_add_f64 v[134:135], v[136:137], v[134:135]
	v_fma_f64 v[130:131], v[207:208], s[26:27], -v[128:129]
	v_add_f64 v[132:133], v[136:137], v[132:133]
	v_add_f64 v[136:137], v[136:137], v[148:149]
	v_fma_f64 v[39:40], v[207:208], s[26:27], v[128:129]
	scratch_load_b64 v[128:129], off, off offset:256 ; 8-byte Folded Reload
	v_add_f64 v[30:31], v[30:31], v[134:135]
	v_add_f64 v[34:35], v[34:35], v[132:133]
	s_delay_alu instid0(VALU_DEP_2) | instskip(SKIP_1) | instid1(VALU_DEP_3)
	v_add_f64 v[30:31], v[130:131], v[30:31]
	v_mul_f64 v[130:131], v[227:228], s[46:47]
	v_add_f64 v[34:35], v[39:40], v[34:35]
	s_delay_alu instid0(VALU_DEP_2) | instskip(SKIP_1) | instid1(VALU_DEP_2)
	v_fma_f64 v[134:135], v[245:246], s[2:3], v[130:131]
	v_fma_f64 v[130:131], v[245:246], s[2:3], -v[130:131]
	v_add_f64 v[28:29], v[134:135], v[28:29]
	v_mul_f64 v[134:135], v[247:248], s[46:47]
	s_delay_alu instid0(VALU_DEP_3)
	v_add_f64 v[32:33], v[130:131], v[32:33]
	scratch_load_b64 v[130:131], off, off offset:288 ; 8-byte Folded Reload
	v_fma_f64 v[148:149], v[223:224], s[2:3], -v[134:135]
	v_fma_f64 v[39:40], v[223:224], s[2:3], v[134:135]
	scratch_load_b64 v[134:135], off, off offset:304 ; 8-byte Folded Reload
	v_add_f64 v[30:31], v[148:149], v[30:31]
	v_mul_f64 v[148:149], v[241:242], s[24:25]
	v_add_f64 v[34:35], v[39:40], v[34:35]
	s_delay_alu instid0(VALU_DEP_2) | instskip(SKIP_1) | instid1(VALU_DEP_2)
	v_fma_f64 v[164:165], v[199:200], s[22:23], v[148:149]
	v_fma_f64 v[148:149], v[199:200], s[22:23], -v[148:149]
	v_add_f64 v[28:29], v[164:165], v[28:29]
	v_mul_f64 v[164:165], v[203:204], s[24:25]
	s_delay_alu instid0(VALU_DEP_3)
	v_add_f64 v[32:33], v[148:149], v[32:33]
	s_clause 0x1
	scratch_load_b64 v[148:149], off, off offset:280
	scratch_load_b64 v[132:133], off, off offset:264
	v_fma_f64 v[166:167], v[237:238], s[22:23], -v[164:165]
	v_fma_f64 v[39:40], v[237:238], s[22:23], v[164:165]
	scratch_load_b64 v[164:165], off, off offset:320 ; 8-byte Folded Reload
	v_add_f64 v[166:167], v[166:167], v[30:31]
	v_fma_f64 v[30:31], v[251:252], s[16:17], v[170:171]
	v_add_f64 v[39:40], v[39:40], v[34:35]
	s_delay_alu instid0(VALU_DEP_2) | instskip(SKIP_1) | instid1(VALU_DEP_1)
	v_add_f64 v[30:31], v[30:31], v[28:29]
	v_fma_f64 v[28:29], v[249:250], s[16:17], -v[168:169]
	v_add_f64 v[28:29], v[28:29], v[166:167]
	v_fma_f64 v[166:167], v[251:252], s[16:17], -v[170:171]
	s_delay_alu instid0(VALU_DEP_1) | instskip(SKIP_4) | instid1(VALU_DEP_1)
	v_add_f64 v[34:35], v[166:167], v[32:33]
	v_add_f64 v[32:33], v[41:42], v[39:40]
	scratch_load_b64 v[41:42], off, off offset:272 ; 8-byte Folded Reload
	v_mul_f64 v[39:40], v[197:198], s[24:25]
	s_waitcnt vmcnt(0)
	v_add_f64 v[39:40], v[41:42], -v[39:40]
	v_mul_f64 v[41:42], v[193:194], s[22:23]
	s_delay_alu instid0(VALU_DEP_2) | instskip(NEXT) | instid1(VALU_DEP_2)
	v_add_f64 v[39:40], v[39:40], v[124:125]
	v_add_f64 v[41:42], v[41:42], v[128:129]
	v_mul_f64 v[128:129], v[211:212], s[34:35]
	v_mul_f64 v[124:125], v[237:238], s[16:17]
	s_delay_alu instid0(VALU_DEP_3) | instskip(SKIP_3) | instid1(VALU_DEP_2)
	v_add_f64 v[41:42], v[41:42], v[126:127]
	scratch_load_b64 v[126:127], off, off offset:296 ; 8-byte Folded Reload
	v_add_f64 v[128:129], v[130:131], -v[128:129]
	v_mul_f64 v[130:131], v[207:208], s[30:31]
	v_add_f64 v[39:40], v[128:129], v[39:40]
	s_delay_alu instid0(VALU_DEP_2)
	v_add_f64 v[130:131], v[130:131], v[132:133]
	v_mul_f64 v[132:133], v[227:228], s[40:41]
	scratch_load_b64 v[128:129], off, off offset:336 ; 8-byte Folded Reload
	v_add_f64 v[41:42], v[130:131], v[41:42]
	v_add_f64 v[132:133], v[134:135], -v[132:133]
	v_mul_f64 v[134:135], v[223:224], s[26:27]
	s_delay_alu instid0(VALU_DEP_2) | instskip(NEXT) | instid1(VALU_DEP_2)
	v_add_f64 v[39:40], v[132:133], v[39:40]
	v_add_f64 v[134:135], v[134:135], v[148:149]
	v_mul_f64 v[148:149], v[241:242], s[38:39]
	s_delay_alu instid0(VALU_DEP_2) | instskip(NEXT) | instid1(VALU_DEP_2)
	v_add_f64 v[41:42], v[134:135], v[41:42]
	v_add_f64 v[148:149], v[164:165], -v[148:149]
	s_clause 0x1
	scratch_load_b64 v[134:135], off, off offset:408
	scratch_load_b64 v[164:165], off, off offset:432
	v_add_f64 v[39:40], v[148:149], v[39:40]
	s_clause 0x1
	scratch_load_b64 v[148:149], off, off offset:376
	scratch_load_b64 v[130:131], off, off offset:312
	s_waitcnt vmcnt(5)
	v_add_f64 v[124:125], v[124:125], v[126:127]
	v_mul_f64 v[126:127], v[253:254], s[36:37]
	s_delay_alu instid0(VALU_DEP_2) | instskip(SKIP_1) | instid1(VALU_DEP_2)
	v_add_f64 v[41:42], v[124:125], v[41:42]
	s_waitcnt vmcnt(4)
	v_add_f64 v[126:127], v[128:129], -v[126:127]
	v_mul_f64 v[128:129], v[249:250], s[8:9]
	s_delay_alu instid0(VALU_DEP_2) | instskip(SKIP_2) | instid1(VALU_DEP_3)
	v_add_f64 v[126:127], v[126:127], v[39:40]
	v_mul_f64 v[39:40], v[197:198], s[34:35]
	s_waitcnt vmcnt(0)
	v_add_f64 v[128:129], v[128:129], v[130:131]
	s_clause 0x1
	scratch_load_b64 v[130:131], off, off offset:392
	scratch_load_b64 v[132:133], off, off offset:344
	v_add_f64 v[124:125], v[128:129], v[41:42]
	s_clause 0x1
	scratch_load_b64 v[41:42], off, off offset:360
	scratch_load_b64 v[128:129], off, off offset:328
	s_waitcnt vmcnt(1)
	v_add_f64 v[39:40], v[41:42], -v[39:40]
	v_mul_f64 v[41:42], v[193:194], s[30:31]
	s_delay_alu instid0(VALU_DEP_2) | instskip(SKIP_1) | instid1(VALU_DEP_2)
	v_add_f64 v[39:40], v[39:40], v[160:161]
	s_waitcnt vmcnt(0)
	v_add_f64 v[41:42], v[41:42], v[128:129]
	v_mul_f64 v[128:129], v[211:212], s[44:45]
	v_mul_f64 v[160:161], v[237:238], s[2:3]
	s_delay_alu instid0(VALU_DEP_3) | instskip(NEXT) | instid1(VALU_DEP_3)
	v_add_f64 v[41:42], v[41:42], v[162:163]
	v_add_f64 v[128:129], v[130:131], -v[128:129]
	v_mul_f64 v[130:131], v[207:208], s[22:23]
	scratch_load_b64 v[162:163], off, off offset:384 ; 8-byte Folded Reload
	v_add_f64 v[39:40], v[128:129], v[39:40]
	v_add_f64 v[130:131], v[130:131], v[132:133]
	v_mul_f64 v[132:133], v[227:228], s[36:37]
	v_mul_f64 v[128:129], v[253:254], s[28:29]
	s_delay_alu instid0(VALU_DEP_3) | instskip(SKIP_3) | instid1(VALU_DEP_2)
	v_add_f64 v[41:42], v[130:131], v[41:42]
	scratch_load_b64 v[130:131], off, off offset:416 ; 8-byte Folded Reload
	v_add_f64 v[132:133], v[134:135], -v[132:133]
	v_mul_f64 v[134:135], v[223:224], s[8:9]
	v_add_f64 v[39:40], v[132:133], v[39:40]
	scratch_load_b64 v[132:133], off, off offset:352 ; 8-byte Folded Reload
	v_add_f64 v[134:135], v[134:135], v[148:149]
	v_mul_f64 v[148:149], v[241:242], s[10:11]
	s_delay_alu instid0(VALU_DEP_2) | instskip(NEXT) | instid1(VALU_DEP_2)
	v_add_f64 v[41:42], v[134:135], v[41:42]
	v_add_f64 v[148:149], v[164:165], -v[148:149]
	s_clause 0x1
	scratch_load_b64 v[134:135], off, off offset:456
	scratch_load_b64 v[164:165], off, off offset:480
	v_add_f64 v[39:40], v[148:149], v[39:40]
	scratch_load_b64 v[148:149], off, off offset:400 ; 8-byte Folded Reload
	s_waitcnt vmcnt(5)
	v_add_f64 v[160:161], v[160:161], v[162:163]
	scratch_load_b64 v[162:163], off, off offset:424 ; 8-byte Folded Reload
	v_add_f64 v[41:42], v[160:161], v[41:42]
	scratch_load_b64 v[160:161], off, off offset:464 ; 8-byte Folded Reload
	s_waitcnt vmcnt(6)
	v_add_f64 v[128:129], v[130:131], -v[128:129]
	v_mul_f64 v[130:131], v[249:250], s[26:27]
	s_waitcnt vmcnt(5)
	s_delay_alu instid0(VALU_DEP_1) | instskip(NEXT) | instid1(VALU_DEP_3)
	v_add_f64 v[132:133], v[130:131], v[132:133]
	v_add_f64 v[130:131], v[128:129], v[39:40]
	v_mul_f64 v[39:40], v[197:198], s[40:41]
	s_delay_alu instid0(VALU_DEP_3)
	v_add_f64 v[128:129], v[132:133], v[41:42]
	s_clause 0x1
	scratch_load_b64 v[41:42], off, off offset:440
	scratch_load_b64 v[132:133], off, off offset:368
	s_waitcnt vmcnt(1)
	v_add_f64 v[39:40], v[41:42], -v[39:40]
	v_mul_f64 v[41:42], v[193:194], s[26:27]
	s_delay_alu instid0(VALU_DEP_2) | instskip(SKIP_1) | instid1(VALU_DEP_2)
	v_add_f64 v[39:40], v[39:40], v[156:157]
	s_waitcnt vmcnt(0)
	v_add_f64 v[41:42], v[41:42], v[132:133]
	v_mul_f64 v[132:133], v[211:212], s[36:37]
	v_mul_f64 v[156:157], v[237:238], s[30:31]
	s_delay_alu instid0(VALU_DEP_3) | instskip(SKIP_3) | instid1(VALU_DEP_2)
	v_add_f64 v[41:42], v[41:42], v[158:159]
	scratch_load_b64 v[158:159], off, off offset:448 ; 8-byte Folded Reload
	v_add_f64 v[132:133], v[134:135], -v[132:133]
	v_mul_f64 v[134:135], v[207:208], s[8:9]
	v_add_f64 v[39:40], v[132:133], v[39:40]
	s_delay_alu instid0(VALU_DEP_2) | instskip(SKIP_2) | instid1(VALU_DEP_3)
	v_add_f64 v[134:135], v[134:135], v[148:149]
	v_mul_f64 v[148:149], v[227:228], s[18:19]
	v_mul_f64 v[132:133], v[253:254], s[46:47]
	v_add_f64 v[41:42], v[134:135], v[41:42]
	s_delay_alu instid0(VALU_DEP_3) | instskip(SKIP_1) | instid1(VALU_DEP_4)
	v_add_f64 v[148:149], v[160:161], -v[148:149]
	v_mul_f64 v[160:161], v[223:224], s[16:17]
	v_add_f64 v[132:133], v[221:222], -v[132:133]
	v_mul_f64 v[134:135], v[249:250], s[2:3]
	s_delay_alu instid0(VALU_DEP_4) | instskip(NEXT) | instid1(VALU_DEP_4)
	v_add_f64 v[39:40], v[148:149], v[39:40]
	v_add_f64 v[160:161], v[160:161], v[162:163]
	v_mul_f64 v[162:163], v[241:242], s[42:43]
	s_delay_alu instid0(VALU_DEP_4) | instskip(NEXT) | instid1(VALU_DEP_3)
	v_add_f64 v[148:149], v[134:135], v[195:196]
	v_add_f64 v[41:42], v[160:161], v[41:42]
	s_delay_alu instid0(VALU_DEP_3) | instskip(NEXT) | instid1(VALU_DEP_1)
	v_add_f64 v[162:163], v[164:165], -v[162:163]
	v_add_f64 v[39:40], v[162:163], v[39:40]
	s_delay_alu instid0(VALU_DEP_1) | instskip(SKIP_1) | instid1(VALU_DEP_1)
	v_add_f64 v[134:135], v[132:133], v[39:40]
	v_mul_f64 v[39:40], v[197:198], s[38:39]
	v_add_f64 v[39:40], v[118:119], -v[39:40]
	v_mul_f64 v[118:119], v[211:212], s[10:11]
	s_delay_alu instid0(VALU_DEP_2) | instskip(NEXT) | instid1(VALU_DEP_2)
	v_add_f64 v[36:37], v[39:40], v[36:37]
	v_add_f64 v[118:119], v[229:230], -v[118:119]
	s_waitcnt vmcnt(0)
	v_add_f64 v[156:157], v[156:157], v[158:159]
	v_mul_f64 v[158:159], v[241:242], s[36:37]
	s_delay_alu instid0(VALU_DEP_3) | instskip(SKIP_4) | instid1(VALU_DEP_3)
	v_add_f64 v[36:37], v[118:119], v[36:37]
	scratch_load_b64 v[118:119], off, off offset:208 ; 8-byte Folded Reload
	v_add_f64 v[41:42], v[156:157], v[41:42]
	v_mul_f64 v[156:157], v[227:228], s[42:43]
	v_add_f64 v[20:21], v[20:21], -v[158:159]
	v_add_f64 v[132:133], v[148:149], v[41:42]
	v_mul_f64 v[41:42], v[193:194], s[16:17]
	v_mul_f64 v[148:149], v[207:208], s[2:3]
	v_add_f64 v[18:19], v[18:19], -v[156:157]
	v_mul_f64 v[156:157], v[223:224], s[30:31]
	s_delay_alu instid0(VALU_DEP_4) | instskip(NEXT) | instid1(VALU_DEP_4)
	v_add_f64 v[41:42], v[41:42], v[243:244]
	v_add_f64 v[148:149], v[148:149], v[213:214]
	s_delay_alu instid0(VALU_DEP_4) | instskip(NEXT) | instid1(VALU_DEP_4)
	v_add_f64 v[18:19], v[18:19], v[36:37]
	v_add_f64 v[156:157], v[156:157], v[225:226]
	s_delay_alu instid0(VALU_DEP_4) | instskip(SKIP_1) | instid1(VALU_DEP_4)
	v_add_f64 v[39:40], v[41:42], v[150:151]
	v_mul_f64 v[41:42], v[237:238], s[8:9]
	v_add_f64 v[18:19], v[20:21], v[18:19]
	s_delay_alu instid0(VALU_DEP_3) | instskip(NEXT) | instid1(VALU_DEP_3)
	v_add_f64 v[39:40], v[148:149], v[39:40]
	v_add_f64 v[41:42], v[41:42], v[116:117]
	v_mul_f64 v[116:117], v[253:254], s[24:25]
	scratch_load_b64 v[148:149], off, off offset:232 ; 8-byte Folded Reload
	v_add_f64 v[36:37], v[156:157], v[39:40]
	v_mul_f64 v[39:40], v[249:250], s[22:23]
	v_add_f64 v[22:23], v[22:23], -v[116:117]
	scratch_load_b64 v[116:117], off, off offset:216 ; 8-byte Folded Reload
	v_add_f64 v[20:21], v[41:42], v[36:37]
	scratch_load_b64 v[36:37], off, off offset:496 ; 8-byte Folded Reload
	v_add_f64 v[18:19], v[22:23], v[18:19]
	s_clause 0x1
	scratch_load_b64 v[22:23], off, off offset:168
	scratch_load_b64 v[41:42], off, off offset:184
	v_add_f64 v[16:17], v[39:40], v[16:17]
	scratch_load_b64 v[39:40], off, off offset:192 ; 8-byte Folded Reload
	v_add_f64 v[16:17], v[16:17], v[20:21]
	v_mul_f64 v[20:21], v[197:198], s[10:11]
	s_waitcnt vmcnt(2)
	s_delay_alu instid0(VALU_DEP_1) | instskip(SKIP_1) | instid1(VALU_DEP_2)
	v_add_f64 v[20:21], v[22:23], -v[20:21]
	v_mul_f64 v[22:23], v[193:194], s[2:3]
	v_add_f64 v[20:21], v[20:21], v[138:139]
	s_delay_alu instid0(VALU_DEP_2) | instskip(SKIP_1) | instid1(VALU_DEP_2)
	v_add_f64 v[22:23], v[22:23], v[36:37]
	v_mul_f64 v[36:37], v[211:212], s[18:19]
	v_add_f64 v[22:23], v[22:23], v[136:137]
	s_waitcnt vmcnt(0)
	s_delay_alu instid0(VALU_DEP_2) | instskip(SKIP_2) | instid1(VALU_DEP_3)
	v_add_f64 v[36:37], v[39:40], -v[36:37]
	v_mul_f64 v[39:40], v[207:208], s[16:17]
	v_mul_f64 v[136:137], v[237:238], s[26:27]
	v_add_f64 v[20:21], v[36:37], v[20:21]
	s_delay_alu instid0(VALU_DEP_3) | instskip(SKIP_2) | instid1(VALU_DEP_3)
	v_add_f64 v[39:40], v[39:40], v[41:42]
	v_mul_f64 v[41:42], v[227:228], s[24:25]
	v_mul_f64 v[36:37], v[253:254], s[34:35]
	v_add_f64 v[22:23], v[39:40], v[22:23]
	s_clause 0x1
	scratch_load_b64 v[39:40], off, off offset:248
	scratch_load_b64 v[138:139], off, off offset:224
	v_add_f64 v[41:42], v[116:117], -v[41:42]
	v_mul_f64 v[116:117], v[223:224], s[22:23]
	s_delay_alu instid0(VALU_DEP_2) | instskip(SKIP_3) | instid1(VALU_DEP_2)
	v_add_f64 v[20:21], v[41:42], v[20:21]
	scratch_load_b64 v[41:42], off, off offset:240 ; 8-byte Folded Reload
	v_add_f64 v[116:117], v[116:117], v[118:119]
	v_mul_f64 v[118:119], v[241:242], s[28:29]
	v_add_f64 v[22:23], v[116:117], v[22:23]
	s_delay_alu instid0(VALU_DEP_2) | instskip(NEXT) | instid1(VALU_DEP_1)
	v_add_f64 v[118:119], v[148:149], -v[118:119]
	v_add_f64 v[20:21], v[118:119], v[20:21]
	s_waitcnt vmcnt(2)
	v_add_f64 v[36:37], v[39:40], -v[36:37]
	s_waitcnt vmcnt(1)
	v_add_f64 v[136:137], v[136:137], v[138:139]
	v_mul_f64 v[39:40], v[249:250], s[30:31]
	s_waitcnt vmcnt(0)
	s_delay_alu instid0(VALU_DEP_1) | instskip(NEXT) | instid1(VALU_DEP_3)
	v_add_f64 v[39:40], v[39:40], v[41:42]
	v_add_f64 v[41:42], v[136:137], v[22:23]
	;; [unrolled: 1-line block ×3, first 2 shown]
	v_mul_lo_u16 v36, v192, 13
	s_delay_alu instid0(VALU_DEP_1) | instskip(NEXT) | instid1(VALU_DEP_1)
	v_and_b32_e32 v36, 0xffff, v36
	v_lshlrev_b32_e32 v36, 4, v36
	v_add_f64 v[20:21], v[39:40], v[41:42]
	ds_store_b128 v36, v[124:127] offset:32
	ds_store_b128 v36, v[128:131] offset:48
	;; [unrolled: 1-line block ×11, first 2 shown]
	ds_store_b128 v36, v[120:123]
	ds_store_b128 v36, v[140:143] offset:192
.LBB0_21:
	s_or_b32 exec_lo, exec_lo, s33
	s_waitcnt lgkmcnt(0)
	s_waitcnt_vscnt null, 0x0
	s_barrier
	buffer_gl0_inv
	ds_load_b128 v[124:127], v255
	ds_load_b128 v[128:131], v255 offset:2912
	ds_load_b128 v[148:151], v255 offset:13104
	;; [unrolled: 1-line block ×7, first 2 shown]
	s_and_saveexec_b32 s2, s0
	s_cbranch_execz .LBB0_23
; %bb.22:
	ds_load_b128 v[184:187], v255 offset:11648
	ds_load_b128 v[188:191], v255 offset:24752
.LBB0_23:
	s_or_b32 exec_lo, exec_lo, s2
	s_waitcnt lgkmcnt(5)
	v_mul_f64 v[16:17], v[10:11], v[150:151]
	v_mul_f64 v[10:11], v[10:11], v[148:149]
	s_waitcnt lgkmcnt(4)
	v_mul_f64 v[18:19], v[14:15], v[138:139]
	v_mul_f64 v[14:15], v[14:15], v[136:137]
	s_waitcnt lgkmcnt(1)
	v_mul_f64 v[20:21], v[6:7], v[162:163]
	s_waitcnt lgkmcnt(0)
	v_mul_f64 v[22:23], v[26:27], v[158:159]
	v_mul_f64 v[26:27], v[26:27], v[156:157]
	s_barrier
	buffer_gl0_inv
	v_mul_f64 v[6:7], v[6:7], v[160:161]
	v_fma_f64 v[16:17], v[8:9], v[148:149], v[16:17]
	v_fma_f64 v[8:9], v[8:9], v[150:151], -v[10:11]
	v_fma_f64 v[10:11], v[12:13], v[136:137], v[18:19]
	v_fma_f64 v[12:13], v[12:13], v[138:139], -v[14:15]
	v_fma_f64 v[14:15], v[4:5], v[160:161], v[20:21]
	v_fma_f64 v[20:21], v[24:25], v[156:157], v[22:23]
	v_fma_f64 v[22:23], v[24:25], v[158:159], -v[26:27]
	v_mul_f64 v[24:25], v[2:3], v[190:191]
	v_mul_f64 v[2:3], v[2:3], v[188:189]
	v_fma_f64 v[18:19], v[4:5], v[162:163], -v[6:7]
	v_add_f64 v[4:5], v[124:125], -v[16:17]
	v_add_f64 v[6:7], v[126:127], -v[8:9]
	;; [unrolled: 1-line block ×6, first 2 shown]
	v_fma_f64 v[36:37], v[0:1], v[188:189], v[24:25]
	v_fma_f64 v[2:3], v[0:1], v[190:191], -v[2:3]
	v_add_f64 v[14:15], v[134:135], -v[18:19]
	v_add_f64 v[18:19], v[122:123], -v[22:23]
	v_fma_f64 v[20:21], v[124:125], 2.0, -v[4:5]
	v_fma_f64 v[22:23], v[126:127], 2.0, -v[6:7]
	;; [unrolled: 1-line block ×6, first 2 shown]
	v_add_f64 v[0:1], v[184:185], -v[36:37]
	scratch_load_b32 v36, off, off offset:40 ; 4-byte Folded Reload
	v_add_f64 v[2:3], v[186:187], -v[2:3]
	v_fma_f64 v[30:31], v[134:135], 2.0, -v[14:15]
	v_fma_f64 v[34:35], v[122:123], 2.0, -v[18:19]
	s_waitcnt vmcnt(0)
	ds_store_b128 v36, v[20:23]
	ds_store_b128 v36, v[4:7] offset:208
	scratch_load_b32 v4, off, off offset:52 ; 4-byte Folded Reload
	s_waitcnt vmcnt(0)
	ds_store_b128 v4, v[24:27]
	ds_store_b128 v4, v[8:11] offset:208
	scratch_load_b32 v4, off, off offset:48 ; 4-byte Folded Reload
	;; [unrolled: 4-line block ×3, first 2 shown]
	s_waitcnt vmcnt(0)
	ds_store_b128 v4, v[32:35]
	ds_store_b128 v4, v[16:19] offset:208
	s_and_saveexec_b32 s2, s0
	s_cbranch_execz .LBB0_25
; %bb.24:
	scratch_load_b32 v8, off, off offset:24 ; 4-byte Folded Reload
	v_fma_f64 v[6:7], v[186:187], 2.0, -v[2:3]
	v_fma_f64 v[4:5], v[184:185], 2.0, -v[0:1]
	s_waitcnt vmcnt(0)
	v_and_b32_e32 v8, 0xffff, v8
	s_delay_alu instid0(VALU_DEP_1)
	v_lshlrev_b32_e32 v8, 4, v8
	ds_store_b128 v8, v[4:7]
	ds_store_b128 v8, v[0:3] offset:208
.LBB0_25:
	s_or_b32 exec_lo, exec_lo, s2
	s_waitcnt lgkmcnt(0)
	s_barrier
	buffer_gl0_inv
	ds_load_b128 v[4:7], v255 offset:8736
	ds_load_b128 v[8:11], v255 offset:17472
	;; [unrolled: 1-line block ×7, first 2 shown]
	s_mov_b32 s2, 0xe8584caa
	s_mov_b32 s3, 0xbfebb67a
	;; [unrolled: 1-line block ×4, first 2 shown]
	s_waitcnt lgkmcnt(6)
	v_mul_f64 v[32:33], v[58:59], v[6:7]
	s_waitcnt lgkmcnt(5)
	v_mul_f64 v[34:35], v[54:55], v[10:11]
	v_mul_f64 v[36:37], v[58:59], v[4:5]
	v_mul_f64 v[39:40], v[54:55], v[8:9]
	s_waitcnt lgkmcnt(4)
	v_mul_f64 v[41:42], v[50:51], v[14:15]
	s_waitcnt lgkmcnt(3)
	v_mul_f64 v[54:55], v[46:47], v[18:19]
	v_mul_f64 v[50:51], v[50:51], v[12:13]
	v_mul_f64 v[46:47], v[46:47], v[16:17]
	;; [unrolled: 6-line block ×3, first 2 shown]
	v_fma_f64 v[32:33], v[56:57], v[4:5], v[32:33]
	v_fma_f64 v[34:35], v[52:53], v[8:9], v[34:35]
	v_fma_f64 v[36:37], v[56:57], v[6:7], -v[36:37]
	v_fma_f64 v[39:40], v[52:53], v[10:11], -v[39:40]
	ds_load_b128 v[4:7], v255
	ds_load_b128 v[8:11], v255 offset:2912
	v_fma_f64 v[12:13], v[48:49], v[12:13], v[41:42]
	v_fma_f64 v[16:17], v[44:45], v[16:17], v[54:55]
	v_fma_f64 v[14:15], v[48:49], v[14:15], -v[50:51]
	v_fma_f64 v[18:19], v[44:45], v[18:19], -v[46:47]
	v_fma_f64 v[20:21], v[64:65], v[20:21], v[58:59]
	v_fma_f64 v[24:25], v[60:61], v[24:25], v[116:117]
	v_fma_f64 v[26:27], v[60:61], v[26:27], -v[62:63]
	s_waitcnt lgkmcnt(0)
	s_barrier
	buffer_gl0_inv
	v_fma_f64 v[22:23], v[64:65], v[22:23], -v[66:67]
	v_add_f64 v[53:54], v[4:5], v[32:33]
	v_add_f64 v[41:42], v[32:33], v[34:35]
	v_add_f64 v[32:33], v[32:33], -v[34:35]
	v_add_f64 v[43:44], v[36:37], v[39:40]
	v_add_f64 v[55:56], v[36:37], -v[39:40]
	v_add_f64 v[36:37], v[6:7], v[36:37]
	v_add_f64 v[45:46], v[12:13], v[16:17]
	;; [unrolled: 1-line block ×7, first 2 shown]
	v_add_f64 v[65:66], v[12:13], -v[16:17]
	v_add_f64 v[118:119], v[20:21], -v[24:25]
	v_add_f64 v[63:64], v[30:31], v[22:23]
	v_add_f64 v[51:52], v[22:23], v[26:27]
	v_add_f64 v[116:117], v[22:23], -v[26:27]
	v_add_f64 v[12:13], v[53:54], v[34:35]
	v_fma_f64 v[4:5], v[41:42], -0.5, v[4:5]
	v_add_f64 v[41:42], v[14:15], -v[18:19]
	v_fma_f64 v[6:7], v[43:44], -0.5, v[6:7]
	v_add_f64 v[14:15], v[36:37], v[39:40]
	scratch_load_b32 v36, off, off offset:64 ; 4-byte Folded Reload
	v_fma_f64 v[8:9], v[45:46], -0.5, v[8:9]
	v_fma_f64 v[10:11], v[47:48], -0.5, v[10:11]
	v_add_f64 v[20:21], v[61:62], v[24:25]
	v_fma_f64 v[48:49], v[49:50], -0.5, v[28:29]
	v_add_f64 v[16:17], v[57:58], v[16:17]
	v_add_f64 v[18:19], v[59:60], v[18:19]
	;; [unrolled: 1-line block ×3, first 2 shown]
	v_fma_f64 v[50:51], v[51:52], -0.5, v[30:31]
	v_fma_f64 v[24:25], v[55:56], s[2:3], v[4:5]
	v_fma_f64 v[28:29], v[55:56], s[8:9], v[4:5]
	;; [unrolled: 1-line block ×4, first 2 shown]
	s_waitcnt vmcnt(0)
	ds_store_b128 v36, v[12:15]
	ds_store_b128 v36, v[24:27] offset:416
	ds_store_b128 v36, v[28:31] offset:832
	scratch_load_b32 v12, off, off offset:60 ; 4-byte Folded Reload
	v_fma_f64 v[32:33], v[41:42], s[2:3], v[8:9]
	v_fma_f64 v[34:35], v[65:66], s[8:9], v[10:11]
	;; [unrolled: 1-line block ×8, first 2 shown]
	s_waitcnt vmcnt(0)
	ds_store_b128 v12, v[16:19]
	ds_store_b128 v12, v[32:35] offset:416
	ds_store_b128 v12, v[44:47] offset:832
	scratch_load_b32 v12, off, off offset:56 ; 4-byte Folded Reload
	s_waitcnt vmcnt(0)
	ds_store_b128 v12, v[20:23]
	ds_store_b128 v12, v[4:7] offset:416
	ds_store_b128 v12, v[8:11] offset:832
	s_waitcnt lgkmcnt(0)
	s_barrier
	buffer_gl0_inv
	ds_load_b128 v[12:15], v255
	ds_load_b128 v[56:59], v255 offset:3744
	ds_load_b128 v[52:55], v255 offset:7488
	;; [unrolled: 1-line block ×6, first 2 shown]
	s_and_saveexec_b32 s0, s1
	s_cbranch_execz .LBB0_27
; %bb.26:
	ds_load_b128 v[4:7], v255 offset:2912
	ds_load_b128 v[8:11], v255 offset:6656
	;; [unrolled: 1-line block ×7, first 2 shown]
	s_waitcnt lgkmcnt(0)
	scratch_store_b128 off, v[16:19], off offset:8 ; 16-byte Folded Spill
.LBB0_27:
	s_or_b32 exec_lo, exec_lo, s0
	s_waitcnt lgkmcnt(5)
	v_mul_f64 v[16:17], v[82:83], v[58:59]
	v_mul_f64 v[18:19], v[82:83], v[56:57]
	s_waitcnt lgkmcnt(4)
	v_mul_f64 v[20:21], v[78:79], v[54:55]
	v_mul_f64 v[22:23], v[78:79], v[52:53]
	;; [unrolled: 3-line block ×3, first 2 shown]
	v_mul_f64 v[32:33], v[70:71], v[50:51]
	v_mul_f64 v[34:35], v[70:71], v[48:49]
	;; [unrolled: 1-line block ×6, first 2 shown]
	s_mov_b32 s8, 0x37e14327
	s_mov_b32 s16, 0xe976ee23
	;; [unrolled: 1-line block ×20, first 2 shown]
	s_waitcnt_vscnt null, 0x0
	s_barrier
	buffer_gl0_inv
	v_fma_f64 v[16:17], v[80:81], v[56:57], v[16:17]
	v_fma_f64 v[18:19], v[80:81], v[58:59], -v[18:19]
	v_fma_f64 v[20:21], v[76:77], v[52:53], v[20:21]
	v_fma_f64 v[22:23], v[76:77], v[54:55], -v[22:23]
	;; [unrolled: 2-line block ×6, first 2 shown]
	v_add_f64 v[41:42], v[16:17], v[28:29]
	v_add_f64 v[43:44], v[18:19], v[30:31]
	;; [unrolled: 1-line block ×4, first 2 shown]
	v_add_f64 v[20:21], v[20:21], -v[32:33]
	v_add_f64 v[22:23], v[22:23], -v[34:35]
	v_add_f64 v[32:33], v[36:37], v[24:25]
	v_add_f64 v[34:35], v[39:40], v[26:27]
	v_add_f64 v[24:25], v[24:25], -v[36:37]
	v_add_f64 v[26:27], v[26:27], -v[39:40]
	;; [unrolled: 1-line block ×4, first 2 shown]
	v_add_f64 v[28:29], v[45:46], v[41:42]
	v_add_f64 v[30:31], v[47:48], v[43:44]
	v_add_f64 v[36:37], v[41:42], -v[32:33]
	v_add_f64 v[39:40], v[43:44], -v[34:35]
	;; [unrolled: 1-line block ×6, first 2 shown]
	v_add_f64 v[20:21], v[24:25], v[20:21]
	v_add_f64 v[22:23], v[26:27], v[22:23]
	v_add_f64 v[24:25], v[16:17], -v[24:25]
	v_add_f64 v[26:27], v[18:19], -v[26:27]
	;; [unrolled: 1-line block ×4, first 2 shown]
	v_add_f64 v[28:29], v[32:33], v[28:29]
	v_add_f64 v[30:31], v[34:35], v[30:31]
	v_add_f64 v[32:33], v[32:33], -v[45:46]
	v_add_f64 v[34:35], v[34:35], -v[47:48]
	v_mul_f64 v[36:37], v[36:37], s[8:9]
	v_mul_f64 v[39:40], v[39:40], s[8:9]
	;; [unrolled: 1-line block ×6, first 2 shown]
	v_add_f64 v[16:17], v[20:21], v[16:17]
	v_add_f64 v[18:19], v[22:23], v[18:19]
	;; [unrolled: 1-line block ×4, first 2 shown]
	v_mul_f64 v[45:46], v[32:33], s[20:21]
	v_mul_f64 v[47:48], v[34:35], s[20:21]
	v_fma_f64 v[20:21], v[32:33], s[20:21], v[36:37]
	v_fma_f64 v[22:23], v[34:35], s[20:21], v[39:40]
	;; [unrolled: 1-line block ×4, first 2 shown]
	v_fma_f64 v[49:50], v[53:54], s[2:3], -v[49:50]
	v_fma_f64 v[51:52], v[55:56], s[2:3], -v[51:52]
	;; [unrolled: 1-line block ×6, first 2 shown]
	v_fma_f64 v[28:29], v[28:29], s[10:11], v[12:13]
	v_fma_f64 v[30:31], v[30:31], s[10:11], v[14:15]
	v_fma_f64 v[41:42], v[41:42], s[18:19], -v[45:46]
	v_fma_f64 v[43:44], v[43:44], s[18:19], -v[47:48]
	v_fma_f64 v[46:47], v[16:17], s[28:29], v[32:33]
	v_fma_f64 v[53:54], v[18:19], s[28:29], v[34:35]
	;; [unrolled: 1-line block ×6, first 2 shown]
	v_add_f64 v[55:56], v[20:21], v[28:29]
	v_add_f64 v[57:58], v[22:23], v[30:31]
	v_add_f64 v[36:37], v[36:37], v[28:29]
	v_add_f64 v[39:40], v[39:40], v[30:31]
	v_add_f64 v[28:29], v[41:42], v[28:29]
	v_add_f64 v[30:31], v[43:44], v[30:31]
	v_add_f64 v[16:17], v[53:54], v[55:56]
	v_add_f64 v[18:19], v[57:58], -v[46:47]
	v_add_f64 v[20:21], v[50:51], v[36:37]
	v_add_f64 v[22:23], v[39:40], -v[48:49]
	v_add_f64 v[24:25], v[28:29], -v[34:35]
	v_add_f64 v[26:27], v[32:33], v[30:31]
	v_add_f64 v[28:29], v[34:35], v[28:29]
	v_add_f64 v[30:31], v[30:31], -v[32:33]
	v_add_f64 v[32:33], v[36:37], -v[50:51]
	v_add_f64 v[34:35], v[48:49], v[39:40]
	v_add_f64 v[44:45], v[55:56], -v[53:54]
	v_add_f64 v[46:47], v[46:47], v[57:58]
	ds_store_b128 v38, v[12:15]
	ds_store_b128 v38, v[16:19] offset:1248
	ds_store_b128 v38, v[20:23] offset:2496
	;; [unrolled: 1-line block ×6, first 2 shown]
	s_and_saveexec_b32 s0, s1
	s_cbranch_execz .LBB0_29
; %bb.28:
	s_clause 0x5
	scratch_load_b128 v[44:47], off, off offset:104
	scratch_load_b128 v[58:61], off, off offset:8
	;; [unrolled: 1-line block ×6, first 2 shown]
	s_waitcnt vmcnt(4)
	v_mul_f64 v[12:13], v[46:47], v[58:59]
	v_mul_f64 v[22:23], v[46:47], v[60:61]
	scratch_load_b128 v[46:49], off, off offset:120 ; 16-byte Folded Reload
	s_waitcnt vmcnt(4)
	v_mul_f64 v[14:15], v[42:43], v[8:9]
	s_waitcnt vmcnt(2)
	v_mul_f64 v[16:17], v[56:57], v[140:141]
	v_mul_f64 v[18:19], v[38:39], v[0:1]
	;; [unrolled: 1-line block ×5, first 2 shown]
	s_waitcnt vmcnt(1)
	v_mul_f64 v[30:31], v[52:53], v[154:155]
	v_mul_f64 v[32:33], v[52:53], v[152:153]
	v_fma_f64 v[12:13], v[44:45], v[60:61], -v[12:13]
	v_fma_f64 v[10:11], v[40:41], v[10:11], -v[14:15]
	;; [unrolled: 1-line block ×4, first 2 shown]
	v_fma_f64 v[8:9], v[40:41], v[8:9], v[20:21]
	v_fma_f64 v[16:17], v[44:45], v[58:59], v[22:23]
	;; [unrolled: 1-line block ×5, first 2 shown]
	v_fma_f64 v[24:25], v[50:51], v[154:155], -v[32:33]
	v_add_f64 v[30:31], v[2:3], v[14:15]
	v_add_f64 v[2:3], v[2:3], -v[14:15]
	v_add_f64 v[32:33], v[8:9], v[16:17]
	v_add_f64 v[8:9], v[8:9], -v[16:17]
	s_waitcnt vmcnt(0)
	v_mul_f64 v[28:29], v[48:49], v[146:147]
	v_mul_f64 v[34:35], v[48:49], v[144:145]
	s_delay_alu instid0(VALU_DEP_2) | instskip(NEXT) | instid1(VALU_DEP_2)
	v_fma_f64 v[20:21], v[46:47], v[144:145], v[28:29]
	v_fma_f64 v[26:27], v[46:47], v[146:147], -v[34:35]
	v_add_f64 v[28:29], v[10:11], v[12:13]
	v_add_f64 v[34:35], v[0:1], v[18:19]
	v_add_f64 v[0:1], v[0:1], -v[18:19]
	v_add_f64 v[10:11], v[10:11], -v[12:13]
	;; [unrolled: 1-line block ×3, first 2 shown]
	v_add_f64 v[18:19], v[24:25], v[26:27]
	v_add_f64 v[20:21], v[22:23], v[20:21]
	;; [unrolled: 1-line block ×3, first 2 shown]
	v_add_f64 v[22:23], v[26:27], -v[24:25]
	v_add_f64 v[12:13], v[34:35], v[32:33]
	v_add_f64 v[38:39], v[0:1], -v[8:9]
	v_add_f64 v[42:43], v[2:3], -v[10:11]
	;; [unrolled: 1-line block ×5, first 2 shown]
	v_add_f64 v[16:17], v[18:19], v[16:17]
	v_add_f64 v[18:19], v[18:19], -v[30:31]
	v_add_f64 v[40:41], v[22:23], -v[2:3]
	v_add_f64 v[12:13], v[20:21], v[12:13]
	v_add_f64 v[20:21], v[20:21], -v[34:35]
	v_add_f64 v[44:45], v[8:9], -v[36:37]
	v_add_f64 v[36:37], v[36:37], v[0:1]
	v_add_f64 v[46:47], v[22:23], v[2:3]
	v_mul_f64 v[48:49], v[38:39], s[2:3]
	v_add_f64 v[22:23], v[10:11], -v[22:23]
	v_mul_f64 v[14:15], v[14:15], s[16:17]
	v_mul_f64 v[24:25], v[24:25], s[8:9]
	;; [unrolled: 1-line block ×3, first 2 shown]
	v_add_f64 v[2:3], v[6:7], v[16:17]
	v_add_f64 v[6:7], v[30:31], -v[28:29]
	v_mul_f64 v[28:29], v[18:19], s[20:21]
	v_mul_f64 v[30:31], v[40:41], s[16:17]
	v_add_f64 v[0:1], v[4:5], v[12:13]
	v_add_f64 v[4:5], v[34:35], -v[32:33]
	v_mul_f64 v[32:33], v[20:21], s[20:21]
	v_mul_f64 v[40:41], v[42:43], s[2:3]
	v_add_f64 v[8:9], v[36:37], v[8:9]
	v_add_f64 v[10:11], v[46:47], v[10:11]
	v_fma_f64 v[36:37], v[44:45], s[26:27], -v[48:49]
	v_fma_f64 v[34:35], v[44:45], s[24:25], v[14:15]
	v_fma_f64 v[18:19], v[18:19], s[20:21], v[24:25]
	;; [unrolled: 1-line block ×3, first 2 shown]
	v_fma_f64 v[14:15], v[38:39], s[2:3], -v[14:15]
	v_fma_f64 v[16:17], v[16:17], s[10:11], v[2:3]
	v_fma_f64 v[24:25], v[6:7], s[22:23], -v[24:25]
	v_fma_f64 v[6:7], v[6:7], s[18:19], -v[28:29]
	v_fma_f64 v[28:29], v[22:23], s[24:25], v[30:31]
	v_fma_f64 v[30:31], v[42:43], s[2:3], -v[30:31]
	v_fma_f64 v[12:13], v[12:13], s[10:11], v[0:1]
	v_fma_f64 v[26:27], v[4:5], s[22:23], -v[26:27]
	v_fma_f64 v[4:5], v[4:5], s[18:19], -v[32:33]
	v_fma_f64 v[22:23], v[22:23], s[26:27], -v[40:41]
	v_fma_f64 v[32:33], v[8:9], s[28:29], v[34:35]
	v_fma_f64 v[34:35], v[8:9], s[28:29], v[36:37]
	;; [unrolled: 1-line block ×3, first 2 shown]
	v_add_f64 v[36:37], v[18:19], v[16:17]
	v_add_f64 v[24:25], v[24:25], v[16:17]
	;; [unrolled: 1-line block ×3, first 2 shown]
	v_fma_f64 v[28:29], v[10:11], s[28:29], v[28:29]
	v_fma_f64 v[30:31], v[10:11], s[28:29], v[30:31]
	v_add_f64 v[40:41], v[20:21], v[12:13]
	v_add_f64 v[42:43], v[26:27], v[12:13]
	v_add_f64 v[4:5], v[4:5], v[12:13]
	v_fma_f64 v[38:39], v[10:11], s[28:29], v[22:23]
	v_add_f64 v[26:27], v[36:37], -v[32:33]
	v_add_f64 v[10:11], v[34:35], v[24:25]
	v_add_f64 v[14:15], v[16:17], -v[8:9]
	v_add_f64 v[18:19], v[8:9], v[16:17]
	;; [unrolled: 2-line block ×3, first 2 shown]
	v_add_f64 v[6:7], v[32:33], v[36:37]
	v_add_f64 v[16:17], v[4:5], -v[30:31]
	v_add_f64 v[12:13], v[30:31], v[4:5]
	v_add_f64 v[4:5], v[40:41], -v[28:29]
	scratch_load_b32 v28, off, off offset:68 ; 4-byte Folded Reload
	v_add_f64 v[20:21], v[38:39], v[42:43]
	v_add_f64 v[8:9], v[42:43], -v[38:39]
	s_waitcnt vmcnt(0)
	v_lshlrev_b32_e32 v28, 4, v28
	ds_store_b128 v28, v[0:3] offset:17472
	ds_store_b128 v28, v[24:27] offset:18720
	;; [unrolled: 1-line block ×7, first 2 shown]
.LBB0_29:
	s_or_b32 exec_lo, exec_lo, s0
	s_waitcnt lgkmcnt(0)
	s_barrier
	buffer_gl0_inv
	ds_load_b128 v[0:3], v255 offset:8736
	ds_load_b128 v[4:7], v255 offset:17472
	;; [unrolled: 1-line block ×7, first 2 shown]
	s_mov_b32 s0, 0xe8584caa
	s_mov_b32 s1, 0xbfebb67a
	s_mov_b32 s3, 0x3febb67a
	s_mov_b32 s2, s0
	s_waitcnt lgkmcnt(6)
	v_mul_f64 v[28:29], v[94:95], v[2:3]
	s_waitcnt lgkmcnt(5)
	v_mul_f64 v[30:31], v[98:99], v[6:7]
	v_mul_f64 v[32:33], v[94:95], v[0:1]
	v_mul_f64 v[34:35], v[98:99], v[4:5]
	s_waitcnt lgkmcnt(4)
	v_mul_f64 v[36:37], v[102:103], v[10:11]
	s_waitcnt lgkmcnt(3)
	v_mul_f64 v[38:39], v[106:107], v[14:15]
	v_mul_f64 v[40:41], v[102:103], v[8:9]
	v_mul_f64 v[42:43], v[106:107], v[12:13]
	;; [unrolled: 6-line block ×3, first 2 shown]
	v_fma_f64 v[28:29], v[92:93], v[0:1], v[28:29]
	v_fma_f64 v[30:31], v[96:97], v[4:5], v[30:31]
	v_fma_f64 v[32:33], v[92:93], v[2:3], -v[32:33]
	v_fma_f64 v[34:35], v[96:97], v[6:7], -v[34:35]
	v_fma_f64 v[8:9], v[100:101], v[8:9], v[36:37]
	v_fma_f64 v[12:13], v[104:105], v[12:13], v[38:39]
	v_fma_f64 v[10:11], v[100:101], v[10:11], -v[40:41]
	v_fma_f64 v[14:15], v[104:105], v[14:15], -v[42:43]
	v_fma_f64 v[16:17], v[108:109], v[16:17], v[44:45]
	v_fma_f64 v[20:21], v[112:113], v[20:21], v[46:47]
	v_fma_f64 v[18:19], v[108:109], v[18:19], -v[48:49]
	v_fma_f64 v[22:23], v[112:113], v[22:23], -v[50:51]
	ds_load_b128 v[0:3], v255
	ds_load_b128 v[4:7], v255 offset:2912
	s_waitcnt lgkmcnt(1)
	v_add_f64 v[48:49], v[0:1], v[28:29]
	v_add_f64 v[36:37], v[28:29], v[30:31]
	v_add_f64 v[28:29], v[28:29], -v[30:31]
	v_add_f64 v[38:39], v[32:33], v[34:35]
	v_add_f64 v[50:51], v[32:33], -v[34:35]
	v_add_f64 v[40:41], v[8:9], v[12:13]
	v_add_f64 v[32:33], v[2:3], v[32:33]
	;; [unrolled: 1-line block ×3, first 2 shown]
	s_waitcnt lgkmcnt(0)
	v_add_f64 v[52:53], v[4:5], v[8:9]
	v_add_f64 v[44:45], v[16:17], v[20:21]
	;; [unrolled: 1-line block ×4, first 2 shown]
	v_add_f64 v[60:61], v[10:11], -v[14:15]
	v_add_f64 v[62:63], v[8:9], -v[12:13]
	v_add_f64 v[56:57], v[24:25], v[16:17]
	v_add_f64 v[58:59], v[26:27], v[18:19]
	v_add_f64 v[64:65], v[18:19], -v[22:23]
	v_add_f64 v[66:67], v[16:17], -v[20:21]
	v_fma_f64 v[36:37], v[36:37], -0.5, v[0:1]
	v_add_f64 v[0:1], v[48:49], v[30:31]
	v_fma_f64 v[38:39], v[38:39], -0.5, v[2:3]
	v_fma_f64 v[40:41], v[40:41], -0.5, v[4:5]
	v_add_f64 v[2:3], v[32:33], v[34:35]
	v_fma_f64 v[42:43], v[42:43], -0.5, v[6:7]
	v_add_f64 v[4:5], v[52:53], v[12:13]
	;; [unrolled: 2-line block ×4, first 2 shown]
	v_add_f64 v[10:11], v[58:59], v[22:23]
	v_fma_f64 v[16:17], v[50:51], s[2:3], v[36:37]
	v_fma_f64 v[12:13], v[50:51], s[0:1], v[36:37]
	;; [unrolled: 1-line block ×12, first 2 shown]
	ds_store_b128 v255, v[0:3]
	ds_store_b128 v255, v[4:7] offset:2912
	ds_store_b128 v255, v[16:19] offset:17472
	;; [unrolled: 1-line block ×8, first 2 shown]
	s_waitcnt lgkmcnt(0)
	s_barrier
	buffer_gl0_inv
	s_and_b32 exec_lo, exec_lo, vcc_lo
	s_cbranch_execz .LBB0_31
; %bb.30:
	v_add_co_u32 v36, s0, s14, v255
	s_delay_alu instid0(VALU_DEP_1)
	v_add_co_ci_u32_e64 v37, null, s15, 0, s0
	s_clause 0x2
	global_load_b128 v[0:3], v255, s[14:15]
	global_load_b128 v[4:7], v255, s[14:15] offset:2016
	global_load_b128 v[8:11], v255, s[14:15] offset:4032
	v_add_co_u32 v16, vcc_lo, 0x1000, v36
	v_add_co_ci_u32_e32 v17, vcc_lo, 0, v37, vcc_lo
	v_add_co_u32 v24, vcc_lo, 0x2000, v36
	v_add_co_ci_u32_e32 v25, vcc_lo, 0, v37, vcc_lo
	;; [unrolled: 2-line block ×5, first 2 shown]
	s_clause 0x8
	global_load_b128 v[12:15], v[16:17], off offset:1952
	global_load_b128 v[16:19], v[16:17], off offset:3968
	;; [unrolled: 1-line block ×9, first 2 shown]
	scratch_load_b64 v[48:49], off, off     ; 8-byte Folded Reload
	v_mad_u64_u32 v[102:103], null, s4, v192, 0
	s_mul_i32 s0, s5, 0x7e0
	s_mul_hi_u32 s1, s4, 0x7e0
	s_mul_i32 s2, s4, 0x7e0
	s_add_i32 s3, s1, s0
	s_mov_b32 s0, 0x14014014
	s_mov_b32 s1, 0x3f440140
	s_waitcnt vmcnt(0)
	v_mov_b32_e32 v57, v48
	ds_load_b128 v[48:51], v255
	ds_load_b128 v[52:55], v255 offset:2016
	v_mad_u64_u32 v[88:89], null, s6, v57, 0
	s_delay_alu instid0(VALU_DEP_1) | instskip(NEXT) | instid1(VALU_DEP_1)
	v_mov_b32_e32 v56, v89
	v_mad_u64_u32 v[72:73], null, s7, v57, v[56:57]
	v_mov_b32_e32 v64, v103
	ds_load_b128 v[56:59], v255 offset:4032
	ds_load_b128 v[60:63], v255 offset:6048
	s_waitcnt lgkmcnt(2)
	v_mul_f64 v[106:107], v[54:55], v[6:7]
	v_mul_f64 v[6:7], v[52:53], v[6:7]
	v_mov_b32_e32 v89, v72
	v_mad_u64_u32 v[90:91], null, s5, v192, v[64:65]
	ds_load_b128 v[64:67], v255 offset:8064
	ds_load_b128 v[68:71], v255 offset:10080
	;; [unrolled: 1-line block ×6, first 2 shown]
	v_lshlrev_b64 v[104:105], 4, v[88:89]
	v_mov_b32_e32 v103, v90
	ds_load_b128 v[88:91], v255 offset:20160
	ds_load_b128 v[92:95], v255 offset:22176
	;; [unrolled: 1-line block ×3, first 2 shown]
	v_add_co_u32 v128, vcc_lo, s12, v104
	v_add_co_ci_u32_e32 v129, vcc_lo, s13, v105, vcc_lo
	v_mul_f64 v[104:105], v[50:51], v[2:3]
	v_mul_f64 v[2:3], v[48:49], v[2:3]
	s_waitcnt lgkmcnt(10)
	v_mul_f64 v[108:109], v[58:59], v[10:11]
	v_mul_f64 v[10:11], v[56:57], v[10:11]
	s_waitcnt lgkmcnt(9)
	;; [unrolled: 3-line block ×3, first 2 shown]
	v_mul_f64 v[116:117], v[74:75], v[26:27]
	v_mul_f64 v[112:113], v[66:67], v[18:19]
	;; [unrolled: 1-line block ×6, first 2 shown]
	s_waitcnt lgkmcnt(5)
	v_mul_f64 v[118:119], v[78:79], v[30:31]
	v_mul_f64 v[30:31], v[76:77], v[30:31]
	s_waitcnt lgkmcnt(4)
	v_mul_f64 v[120:121], v[82:83], v[34:35]
	v_mul_f64 v[34:35], v[80:81], v[34:35]
	s_waitcnt lgkmcnt(3)
	v_mul_f64 v[122:123], v[86:87], v[38:39]
	v_mul_f64 v[38:39], v[84:85], v[38:39]
	s_waitcnt lgkmcnt(2)
	v_mul_f64 v[124:125], v[90:91], v[42:43]
	v_mul_f64 v[42:43], v[88:89], v[42:43]
	s_waitcnt lgkmcnt(1)
	v_mul_f64 v[126:127], v[94:95], v[46:47]
	v_mul_f64 v[46:47], v[92:93], v[46:47]
	v_fma_f64 v[6:7], v[4:5], v[54:55], -v[6:7]
	v_lshlrev_b64 v[102:103], 4, v[102:103]
	s_delay_alu instid0(VALU_DEP_1) | instskip(NEXT) | instid1(VALU_DEP_2)
	v_add_co_u32 v102, vcc_lo, v128, v102
	v_add_co_ci_u32_e32 v103, vcc_lo, v129, v103, vcc_lo
	s_delay_alu instid0(VALU_DEP_2) | instskip(NEXT) | instid1(VALU_DEP_2)
	v_add_co_u32 v128, vcc_lo, v102, s2
	v_add_co_ci_u32_e32 v129, vcc_lo, s3, v103, vcc_lo
	v_fma_f64 v[48:49], v[48:49], v[0:1], v[104:105]
	v_fma_f64 v[2:3], v[0:1], v[50:51], -v[2:3]
	v_fma_f64 v[50:51], v[52:53], v[4:5], v[106:107]
	v_fma_f64 v[52:53], v[56:57], v[8:9], v[108:109]
	v_fma_f64 v[10:11], v[8:9], v[58:59], -v[10:11]
	v_fma_f64 v[54:55], v[60:61], v[12:13], v[110:111]
	v_fma_f64 v[14:15], v[12:13], v[62:63], -v[14:15]
	;; [unrolled: 2-line block ×10, first 2 shown]
	v_add_co_u32 v130, vcc_lo, v128, s2
	v_add_co_ci_u32_e32 v131, vcc_lo, s3, v129, vcc_lo
	v_mul_f64 v[6:7], v[6:7], s[0:1]
	s_delay_alu instid0(VALU_DEP_3) | instskip(NEXT) | instid1(VALU_DEP_3)
	v_add_co_u32 v72, vcc_lo, v130, s2
	v_add_co_ci_u32_e32 v73, vcc_lo, s3, v131, vcc_lo
	s_delay_alu instid0(VALU_DEP_2) | instskip(NEXT) | instid1(VALU_DEP_2)
	v_add_co_u32 v74, vcc_lo, v72, s2
	v_add_co_ci_u32_e32 v75, vcc_lo, s3, v73, vcc_lo
	v_mul_f64 v[0:1], v[48:49], s[0:1]
	v_mul_f64 v[2:3], v[2:3], s[0:1]
	;; [unrolled: 1-line block ×11, first 2 shown]
	v_add_co_u32 v76, vcc_lo, v74, s2
	v_mul_f64 v[24:25], v[60:61], s[0:1]
	v_mul_f64 v[26:27], v[26:27], s[0:1]
	;; [unrolled: 1-line block ×4, first 2 shown]
	v_add_co_ci_u32_e32 v77, vcc_lo, s3, v75, vcc_lo
	v_mul_f64 v[32:33], v[64:65], s[0:1]
	v_mul_f64 v[34:35], v[34:35], s[0:1]
	;; [unrolled: 1-line block ×8, first 2 shown]
	v_add_co_u32 v48, vcc_lo, v76, s2
	v_add_co_ci_u32_e32 v49, vcc_lo, s3, v77, vcc_lo
	s_delay_alu instid0(VALU_DEP_2) | instskip(NEXT) | instid1(VALU_DEP_2)
	v_add_co_u32 v50, vcc_lo, v48, s2
	v_add_co_ci_u32_e32 v51, vcc_lo, s3, v49, vcc_lo
	s_delay_alu instid0(VALU_DEP_2) | instskip(NEXT) | instid1(VALU_DEP_2)
	;; [unrolled: 3-line block ×5, first 2 shown]
	v_add_co_u32 v58, vcc_lo, v56, s2
	v_add_co_ci_u32_e32 v59, vcc_lo, s3, v57, vcc_lo
	s_clause 0x4
	global_store_b128 v[102:103], v[0:3], off
	global_store_b128 v[128:129], v[4:7], off
	global_store_b128 v[130:131], v[8:11], off
	global_store_b128 v[72:73], v[12:15], off
	global_store_b128 v[74:75], v[16:19], off
	global_store_b128 v[76:77], v[20:23], off
	global_store_b128 v[48:49], v[24:27], off
	global_store_b128 v[50:51], v[28:31], off
	global_store_b128 v[52:53], v[32:35], off
	global_store_b128 v[54:55], v[36:39], off
	global_store_b128 v[56:57], v[40:43], off
	global_store_b128 v[58:59], v[44:47], off
	global_load_b128 v[0:3], v[100:101], off offset:3712
	s_waitcnt vmcnt(0) lgkmcnt(0)
	v_mul_f64 v[4:5], v[98:99], v[2:3]
	v_mul_f64 v[2:3], v[96:97], v[2:3]
	s_delay_alu instid0(VALU_DEP_2) | instskip(NEXT) | instid1(VALU_DEP_2)
	v_fma_f64 v[4:5], v[96:97], v[0:1], v[4:5]
	v_fma_f64 v[2:3], v[0:1], v[98:99], -v[2:3]
	s_delay_alu instid0(VALU_DEP_2) | instskip(NEXT) | instid1(VALU_DEP_2)
	v_mul_f64 v[0:1], v[4:5], s[0:1]
	v_mul_f64 v[2:3], v[2:3], s[0:1]
	v_add_co_u32 v4, vcc_lo, v58, s2
	v_add_co_ci_u32_e32 v5, vcc_lo, s3, v59, vcc_lo
	global_store_b128 v[4:5], v[0:3], off
.LBB0_31:
	s_endpgm
	.section	.rodata,"a",@progbits
	.p2align	6, 0x0
	.amdhsa_kernel bluestein_single_fwd_len1638_dim1_dp_op_CI_CI
		.amdhsa_group_segment_fixed_size 26208
		.amdhsa_private_segment_fixed_size 508
		.amdhsa_kernarg_size 104
		.amdhsa_user_sgpr_count 15
		.amdhsa_user_sgpr_dispatch_ptr 0
		.amdhsa_user_sgpr_queue_ptr 0
		.amdhsa_user_sgpr_kernarg_segment_ptr 1
		.amdhsa_user_sgpr_dispatch_id 0
		.amdhsa_user_sgpr_private_segment_size 0
		.amdhsa_wavefront_size32 1
		.amdhsa_uses_dynamic_stack 0
		.amdhsa_enable_private_segment 1
		.amdhsa_system_sgpr_workgroup_id_x 1
		.amdhsa_system_sgpr_workgroup_id_y 0
		.amdhsa_system_sgpr_workgroup_id_z 0
		.amdhsa_system_sgpr_workgroup_info 0
		.amdhsa_system_vgpr_workitem_id 0
		.amdhsa_next_free_vgpr 256
		.amdhsa_next_free_sgpr 48
		.amdhsa_reserve_vcc 1
		.amdhsa_float_round_mode_32 0
		.amdhsa_float_round_mode_16_64 0
		.amdhsa_float_denorm_mode_32 3
		.amdhsa_float_denorm_mode_16_64 3
		.amdhsa_dx10_clamp 1
		.amdhsa_ieee_mode 1
		.amdhsa_fp16_overflow 0
		.amdhsa_workgroup_processor_mode 1
		.amdhsa_memory_ordered 1
		.amdhsa_forward_progress 0
		.amdhsa_shared_vgpr_count 0
		.amdhsa_exception_fp_ieee_invalid_op 0
		.amdhsa_exception_fp_denorm_src 0
		.amdhsa_exception_fp_ieee_div_zero 0
		.amdhsa_exception_fp_ieee_overflow 0
		.amdhsa_exception_fp_ieee_underflow 0
		.amdhsa_exception_fp_ieee_inexact 0
		.amdhsa_exception_int_div_zero 0
	.end_amdhsa_kernel
	.text
.Lfunc_end0:
	.size	bluestein_single_fwd_len1638_dim1_dp_op_CI_CI, .Lfunc_end0-bluestein_single_fwd_len1638_dim1_dp_op_CI_CI
                                        ; -- End function
	.section	.AMDGPU.csdata,"",@progbits
; Kernel info:
; codeLenInByte = 24104
; NumSgprs: 50
; NumVgprs: 256
; ScratchSize: 508
; MemoryBound: 0
; FloatMode: 240
; IeeeMode: 1
; LDSByteSize: 26208 bytes/workgroup (compile time only)
; SGPRBlocks: 6
; VGPRBlocks: 31
; NumSGPRsForWavesPerEU: 50
; NumVGPRsForWavesPerEU: 256
; Occupancy: 5
; WaveLimiterHint : 1
; COMPUTE_PGM_RSRC2:SCRATCH_EN: 1
; COMPUTE_PGM_RSRC2:USER_SGPR: 15
; COMPUTE_PGM_RSRC2:TRAP_HANDLER: 0
; COMPUTE_PGM_RSRC2:TGID_X_EN: 1
; COMPUTE_PGM_RSRC2:TGID_Y_EN: 0
; COMPUTE_PGM_RSRC2:TGID_Z_EN: 0
; COMPUTE_PGM_RSRC2:TIDIG_COMP_CNT: 0
	.text
	.p2alignl 7, 3214868480
	.fill 96, 4, 3214868480
	.type	__hip_cuid_95002e0ce2782006,@object ; @__hip_cuid_95002e0ce2782006
	.section	.bss,"aw",@nobits
	.globl	__hip_cuid_95002e0ce2782006
__hip_cuid_95002e0ce2782006:
	.byte	0                               ; 0x0
	.size	__hip_cuid_95002e0ce2782006, 1

	.ident	"AMD clang version 19.0.0git (https://github.com/RadeonOpenCompute/llvm-project roc-6.4.0 25133 c7fe45cf4b819c5991fe208aaa96edf142730f1d)"
	.section	".note.GNU-stack","",@progbits
	.addrsig
	.addrsig_sym __hip_cuid_95002e0ce2782006
	.amdgpu_metadata
---
amdhsa.kernels:
  - .args:
      - .actual_access:  read_only
        .address_space:  global
        .offset:         0
        .size:           8
        .value_kind:     global_buffer
      - .actual_access:  read_only
        .address_space:  global
        .offset:         8
        .size:           8
        .value_kind:     global_buffer
      - .actual_access:  read_only
        .address_space:  global
        .offset:         16
        .size:           8
        .value_kind:     global_buffer
      - .actual_access:  read_only
        .address_space:  global
        .offset:         24
        .size:           8
        .value_kind:     global_buffer
      - .actual_access:  read_only
        .address_space:  global
        .offset:         32
        .size:           8
        .value_kind:     global_buffer
      - .offset:         40
        .size:           8
        .value_kind:     by_value
      - .address_space:  global
        .offset:         48
        .size:           8
        .value_kind:     global_buffer
      - .address_space:  global
        .offset:         56
        .size:           8
        .value_kind:     global_buffer
      - .address_space:  global
        .offset:         64
        .size:           8
        .value_kind:     global_buffer
      - .address_space:  global
        .offset:         72
        .size:           8
        .value_kind:     global_buffer
      - .offset:         80
        .size:           4
        .value_kind:     by_value
      - .address_space:  global
        .offset:         88
        .size:           8
        .value_kind:     global_buffer
      - .address_space:  global
        .offset:         96
        .size:           8
        .value_kind:     global_buffer
    .group_segment_fixed_size: 26208
    .kernarg_segment_align: 8
    .kernarg_segment_size: 104
    .language:       OpenCL C
    .language_version:
      - 2
      - 0
    .max_flat_workgroup_size: 182
    .name:           bluestein_single_fwd_len1638_dim1_dp_op_CI_CI
    .private_segment_fixed_size: 508
    .sgpr_count:     50
    .sgpr_spill_count: 0
    .symbol:         bluestein_single_fwd_len1638_dim1_dp_op_CI_CI.kd
    .uniform_work_group_size: 1
    .uses_dynamic_stack: false
    .vgpr_count:     256
    .vgpr_spill_count: 135
    .wavefront_size: 32
    .workgroup_processor_mode: 1
amdhsa.target:   amdgcn-amd-amdhsa--gfx1100
amdhsa.version:
  - 1
  - 2
...

	.end_amdgpu_metadata
